;; amdgpu-corpus repo=ROCm/rocFFT kind=compiled arch=gfx1201 opt=O3
	.text
	.amdgcn_target "amdgcn-amd-amdhsa--gfx1201"
	.amdhsa_code_object_version 6
	.protected	bluestein_single_back_len672_dim1_half_op_CI_CI ; -- Begin function bluestein_single_back_len672_dim1_half_op_CI_CI
	.globl	bluestein_single_back_len672_dim1_half_op_CI_CI
	.p2align	8
	.type	bluestein_single_back_len672_dim1_half_op_CI_CI,@function
bluestein_single_back_len672_dim1_half_op_CI_CI: ; @bluestein_single_back_len672_dim1_half_op_CI_CI
; %bb.0:
	s_load_b128 s[16:19], s[0:1], 0x28
	v_mul_u32_u24_e32 v1, 0x493, v0
	s_mov_b32 s2, exec_lo
	v_mov_b32_e32 v9, 0
	s_delay_alu instid0(VALU_DEP_2) | instskip(NEXT) | instid1(VALU_DEP_1)
	v_lshrrev_b32_e32 v1, 16, v1
	v_add_nc_u32_e32 v8, ttmp9, v1
	s_wait_kmcnt 0x0
	s_delay_alu instid0(VALU_DEP_1)
	v_cmpx_gt_u64_e64 s[16:17], v[8:9]
	s_cbranch_execz .LBB0_10
; %bb.1:
	s_clause 0x1
	s_load_b128 s[4:7], s[0:1], 0x18
	s_load_b128 s[8:11], s[0:1], 0x0
	v_mul_lo_u16 v1, v1, 56
	s_movk_i32 s2, 0xfba0
	s_mov_b32 s3, -1
	s_delay_alu instid0(VALU_DEP_1) | instskip(NEXT) | instid1(VALU_DEP_1)
	v_sub_nc_u16 v0, v0, v1
	v_and_b32_e32 v55, 0xffff, v0
	s_wait_kmcnt 0x0
	s_load_b128 s[12:15], s[4:5], 0x0
	s_wait_kmcnt 0x0
	v_mad_co_u64_u32 v[1:2], null, s14, v8, 0
	v_mad_co_u64_u32 v[3:4], null, s12, v55, 0
	s_mul_u64 s[4:5], s[12:13], 0x540
	s_mul_u64 s[2:3], s[12:13], s[2:3]
	s_delay_alu instid0(VALU_DEP_1) | instskip(NEXT) | instid1(VALU_DEP_1)
	v_mad_co_u64_u32 v[5:6], null, s15, v8, v[2:3]
	v_mov_b32_e32 v2, v5
	s_delay_alu instid0(VALU_DEP_3) | instskip(SKIP_2) | instid1(VALU_DEP_4)
	v_mad_co_u64_u32 v[6:7], null, s13, v55, v[4:5]
	v_lshlrev_b32_e32 v39, 2, v55
	v_or_b32_e32 v44, 0x1c0, v55
	v_lshlrev_b64_e32 v[1:2], 2, v[1:2]
	v_lshlrev_b32_e32 v72, 3, v55
	v_add_nc_u32_e32 v119, 0xa8, v55
	v_add_nc_u32_e32 v118, 0x70, v55
	v_mov_b32_e32 v4, v6
	v_mad_co_u64_u32 v[5:6], null, s12, v44, 0
	v_add_co_u32 v13, vcc_lo, s18, v1
	s_delay_alu instid0(VALU_DEP_3)
	v_lshlrev_b64_e32 v[3:4], 2, v[3:4]
	v_add_co_ci_u32_e32 v14, vcc_lo, s19, v2, vcc_lo
	s_clause 0x9
	global_load_b32 v58, v39, s[8:9] offset:1344
	global_load_b32 v53, v39, s[8:9] offset:1568
	global_load_b32 v59, v39, s[8:9]
	global_load_b32 v57, v39, s[8:9] offset:224
	global_load_b32 v51, v39, s[8:9] offset:448
	;; [unrolled: 1-line block ×7, first 2 shown]
	v_add_co_u32 v1, vcc_lo, v13, v3
	s_wait_alu 0xfffd
	v_add_co_ci_u32_e32 v2, vcc_lo, v14, v4, vcc_lo
	v_mov_b32_e32 v3, v6
	s_delay_alu instid0(VALU_DEP_3) | instskip(SKIP_1) | instid1(VALU_DEP_3)
	v_add_co_u32 v6, vcc_lo, v1, s4
	s_wait_alu 0xfffd
	v_add_co_ci_u32_e32 v7, vcc_lo, s5, v2, vcc_lo
	global_load_b32 v15, v[1:2], off
	v_add_co_u32 v9, vcc_lo, v6, s2
	s_wait_alu 0xfffd
	v_add_co_ci_u32_e32 v10, vcc_lo, s3, v7, vcc_lo
	v_mad_co_u64_u32 v[3:4], null, s13, v44, v[3:4]
	s_delay_alu instid0(VALU_DEP_3) | instskip(SKIP_1) | instid1(VALU_DEP_3)
	v_add_co_u32 v1, vcc_lo, v9, s4
	s_wait_alu 0xfffd
	v_add_co_ci_u32_e32 v2, vcc_lo, s5, v10, vcc_lo
	global_load_b32 v38, v39, s[8:9] offset:1120
	v_add_co_u32 v11, vcc_lo, v1, s2
	s_wait_alu 0xfffd
	v_add_co_ci_u32_e32 v12, vcc_lo, s3, v2, vcc_lo
	global_load_b32 v7, v[6:7], off
	global_load_b32 v36, v39, s[8:9] offset:2464
	v_mov_b32_e32 v6, v3
	global_load_b32 v9, v[9:10], off
	v_mad_co_u64_u32 v[3:4], null, 0xe0, s12, v[11:12]
	global_load_b32 v10, v[1:2], off
	v_add_nc_u32_e32 v82, 0x400, v39
	v_add_nc_u32_e32 v83, 0x200, v39
	;; [unrolled: 1-line block ×3, first 2 shown]
	v_mov_b32_e32 v1, v4
	v_lshlrev_b64_e32 v[5:6], 2, v[5:6]
	s_delay_alu instid0(VALU_DEP_2) | instskip(NEXT) | instid1(VALU_DEP_2)
	v_mad_co_u64_u32 v[1:2], null, 0xe0, s13, v[1:2]
	v_add_co_u32 v4, vcc_lo, v13, v5
	s_wait_alu 0xfffd
	s_delay_alu instid0(VALU_DEP_3)
	v_add_co_ci_u32_e32 v5, vcc_lo, v14, v6, vcc_lo
	s_clause 0x1
	global_load_b32 v6, v[11:12], off
	global_load_b32 v5, v[4:5], off
	v_mov_b32_e32 v4, v1
	v_add_co_u32 v1, vcc_lo, v3, s4
	s_wait_alu 0xfffd
	s_delay_alu instid0(VALU_DEP_2)
	v_add_co_ci_u32_e32 v2, vcc_lo, s5, v4, vcc_lo
	global_load_b32 v11, v[3:4], off
	v_add_co_u32 v3, vcc_lo, v1, s2
	s_wait_alu 0xfffd
	v_add_co_ci_u32_e32 v4, vcc_lo, s3, v2, vcc_lo
	global_load_b32 v12, v[1:2], off
	v_add_co_u32 v1, vcc_lo, v3, s4
	s_wait_alu 0xfffd
	;; [unrolled: 4-line block ×4, first 2 shown]
	v_add_co_ci_u32_e32 v2, vcc_lo, s5, v4, vcc_lo
	global_load_b32 v4, v[3:4], off
	global_load_b32 v2, v[1:2], off
	v_add_nc_u32_e32 v1, 0x600, v39
	s_load_b128 s[4:7], s[6:7], 0x0
	v_add_nc_u32_e32 v3, 0x800, v39
	s_load_b64 s[2:3], s[0:1], 0x38
	v_cmp_gt_u16_e32 vcc_lo, 40, v0
	s_wait_loadcnt 0x15
	v_lshrrev_b32_e32 v62, 16, v59
	s_wait_loadcnt 0x14
	v_lshrrev_b32_e32 v60, 16, v57
	v_lshrrev_b32_e32 v61, 16, v58
	;; [unrolled: 1-line block ×3, first 2 shown]
	s_wait_loadcnt 0x13
	v_lshrrev_b32_e32 v54, 16, v51
	s_wait_loadcnt 0x10
	v_lshrrev_b32_e32 v52, 16, v50
	v_lshrrev_b32_e32 v49, 16, v47
	s_wait_loadcnt 0xf
	v_lshrrev_b32_e32 v48, 16, v46
	;; [unrolled: 3-line block ×3, first 2 shown]
	s_wait_loadcnt 0xd
	v_lshrrev_b32_e32 v16, 16, v15
	v_mul_f16_e32 v17, v62, v15
	s_delay_alu instid0(VALU_DEP_2) | instskip(NEXT) | instid1(VALU_DEP_2)
	v_mul_f16_e32 v18, v62, v16
	v_fma_f16 v16, v59, v16, -v17
	s_delay_alu instid0(VALU_DEP_2)
	v_fmac_f16_e32 v18, v59, v15
	s_wait_loadcnt 0xc
	v_lshrrev_b32_e32 v40, 16, v38
	s_wait_loadcnt 0xb
	v_lshrrev_b32_e32 v19, 16, v7
	v_mul_f16_e32 v20, v61, v7
	v_pack_b32_f16 v16, v18, v16
	s_wait_loadcnt 0x9
	v_lshrrev_b32_e32 v17, 16, v9
	v_lshrrev_b32_e32 v37, 16, v36
	v_mul_f16_e32 v15, v61, v19
	v_fma_f16 v19, v58, v19, -v20
	v_mul_f16_e32 v20, v60, v9
	s_wait_loadcnt 0x8
	v_lshrrev_b32_e32 v18, 16, v10
	v_mul_f16_e32 v21, v56, v10
	v_fmac_f16_e32 v15, v58, v7
	v_mul_f16_e32 v7, v60, v17
	v_fma_f16 v17, v57, v17, -v20
	s_delay_alu instid0(VALU_DEP_3) | instskip(NEXT) | instid1(VALU_DEP_3)
	v_pack_b32_f16 v15, v15, v19
	v_fmac_f16_e32 v7, v57, v9
	v_mul_f16_e32 v9, v56, v18
	v_fma_f16 v18, v53, v18, -v21
	ds_store_b32 v39, v15 offset:1344
	v_pack_b32_f16 v7, v7, v17
	v_fmac_f16_e32 v9, v53, v10
	s_wait_loadcnt 0x7
	v_lshrrev_b32_e32 v19, 16, v6
	v_mul_f16_e32 v20, v54, v6
	s_wait_loadcnt 0x6
	v_lshrrev_b32_e32 v21, 16, v5
	v_mul_f16_e32 v22, v52, v5
	ds_store_2addr_b32 v39, v16, v7 offset1:56
	v_mul_f16_e32 v15, v54, v19
	v_fma_f16 v10, v51, v19, -v20
	v_mul_f16_e32 v17, v52, v21
	v_fma_f16 v19, v50, v21, -v22
	s_delay_alu instid0(VALU_DEP_4)
	v_fmac_f16_e32 v15, v51, v6
	s_wait_loadcnt 0x5
	v_lshrrev_b32_e32 v6, 16, v11
	v_fmac_f16_e32 v17, v50, v5
	v_pack_b32_f16 v5, v9, v18
	v_mul_f16_e32 v9, v49, v11
	v_pack_b32_f16 v7, v15, v10
	v_mul_f16_e32 v10, v49, v6
	s_wait_loadcnt 0x4
	v_lshrrev_b32_e32 v16, 16, v12
	v_pack_b32_f16 v15, v17, v19
	v_mul_f16_e32 v17, v48, v12
	v_fma_f16 v6, v47, v6, -v9
	v_fmac_f16_e32 v10, v47, v11
	s_wait_loadcnt 0x3
	v_lshrrev_b32_e32 v9, 16, v13
	v_mul_f16_e32 v11, v48, v16
	v_fma_f16 v16, v46, v16, -v17
	v_mul_f16_e32 v17, v45, v13
	v_pack_b32_f16 v6, v10, v6
	v_mul_f16_e32 v10, v45, v9
	v_fmac_f16_e32 v11, v46, v12
	s_wait_loadcnt 0x2
	v_lshrrev_b32_e32 v12, 16, v14
	v_fma_f16 v9, v43, v9, -v17
	v_mul_f16_e32 v17, v42, v14
	v_fmac_f16_e32 v10, v43, v13
	s_wait_loadcnt 0x1
	v_lshrrev_b32_e32 v13, 16, v4
	s_wait_loadcnt 0x0
	v_lshrrev_b32_e32 v19, 16, v2
	v_mul_f16_e32 v18, v42, v12
	v_fma_f16 v12, v41, v12, -v17
	v_mul_f16_e32 v17, v40, v4
	v_mul_f16_e32 v20, v40, v13
	;; [unrolled: 1-line block ×4, first 2 shown]
	v_fmac_f16_e32 v18, v41, v14
	v_fma_f16 v13, v38, v13, -v17
	v_fmac_f16_e32 v20, v38, v4
	v_fma_f16 v4, v36, v19, -v21
	v_fmac_f16_e32 v22, v36, v2
	v_pack_b32_f16 v2, v11, v16
	v_pack_b32_f16 v9, v10, v9
	;; [unrolled: 1-line block ×5, first 2 shown]
	ds_store_2addr_b32 v82, v5, v15 offset0:136 offset1:192
	ds_store_2addr_b32 v39, v7, v6 offset0:112 offset1:168
	;; [unrolled: 1-line block ×4, first 2 shown]
	ds_store_b32 v39, v4 offset:2464
	global_wb scope:SCOPE_SE
	s_wait_dscnt 0x0
	s_wait_kmcnt 0x0
	s_barrier_signal -1
	s_barrier_wait -1
	global_inv scope:SCOPE_SE
	ds_load_2addr_b32 v[5:6], v39 offset1:56
	ds_load_2addr_b32 v[9:10], v82 offset0:80 offset1:136
	ds_load_2addr_b32 v[11:12], v39 offset0:112 offset1:168
	ds_load_2addr_b32 v[13:14], v82 offset0:192 offset1:248
	ds_load_2addr_b32 v[15:16], v83 offset0:96 offset1:152
	ds_load_2addr_b32 v[17:18], v3 offset0:48 offset1:104
	v_and_b32_e32 v22, 1, v55
	v_add_co_u32 v2, null, v55, 56
	v_lshlrev_b32_e32 v4, 1, v55
	global_wb scope:SCOPE_SE
	s_wait_dscnt 0x0
	v_lshlrev_b32_e32 v24, 2, v22
	v_lshlrev_b32_e32 v71, 3, v2
	s_barrier_signal -1
	v_lshlrev_b32_e32 v23, 2, v4
	s_barrier_wait -1
	global_inv scope:SCOPE_SE
	v_add_nc_u32_e32 v120, 0x1c0, v4
	v_pk_add_f16 v19, v5, v9 neg_lo:[0,1] neg_hi:[0,1]
	v_pk_add_f16 v7, v6, v10 neg_lo:[0,1] neg_hi:[0,1]
	;; [unrolled: 1-line block ×6, first 2 shown]
	v_pk_fma_f16 v18, v5, 2.0, v19 op_sel_hi:[1,0,1] neg_lo:[0,0,1] neg_hi:[0,0,1]
	v_pk_fma_f16 v6, v6, 2.0, v7 op_sel_hi:[1,0,1] neg_lo:[0,0,1] neg_hi:[0,0,1]
	;; [unrolled: 1-line block ×6, first 2 shown]
	ds_store_b64 v72, v[18:19]
	ds_store_b64 v71, v[6:7]
	ds_store_2addr_b64 v72, v[9:10], v[12:13] offset0:112 offset1:168
	ds_store_b64 v23, v[20:21] offset:1792
	ds_store_b64 v72, v[16:17] offset:2240
	global_wb scope:SCOPE_SE
	s_wait_dscnt 0x0
	s_barrier_signal -1
	s_barrier_wait -1
	global_inv scope:SCOPE_SE
	global_load_b32 v63, v24, s[10:11]
	v_and_or_b32 v10, 0x7c, v4, v22
	v_lshlrev_b32_e32 v6, 1, v2
	v_lshlrev_b32_e32 v7, 1, v119
	;; [unrolled: 1-line block ×5, first 2 shown]
	ds_load_2addr_b32 v[10:11], v39 offset1:56
	ds_load_2addr_b32 v[12:13], v82 offset0:80 offset1:136
	ds_load_2addr_b32 v[14:15], v39 offset0:112 offset1:168
	;; [unrolled: 1-line block ×5, first 2 shown]
	v_and_or_b32 v25, 0xfc, v6, v22
	v_and_or_b32 v27, 0x1fc, v7, v22
	;; [unrolled: 1-line block ×5, first 2 shown]
	v_lshlrev_b32_e32 v66, 2, v25
	v_lshlrev_b32_e32 v68, 2, v27
	;; [unrolled: 1-line block ×5, first 2 shown]
	v_and_b32_e32 v23, 3, v55
	global_wb scope:SCOPE_SE
	s_wait_loadcnt_dscnt 0x0
	s_barrier_signal -1
	s_barrier_wait -1
	global_inv scope:SCOPE_SE
	v_lshlrev_b32_e32 v24, 2, v23
	v_lshrrev_b32_e32 v22, 16, v10
	v_lshrrev_b32_e32 v25, 16, v12
	;; [unrolled: 1-line block ×13, first 2 shown]
	s_delay_alu instid0(VALU_DEP_1)
	v_mul_f16_e32 v64, v25, v80
	v_mul_f16_e32 v73, v12, v80
	;; [unrolled: 1-line block ×12, first 2 shown]
	v_fma_f16 v12, v12, v63, -v64
	v_fmac_f16_e32 v73, v25, v63
	v_fma_f16 v13, v13, v63, -v74
	v_fmac_f16_e32 v75, v27, v63
	;; [unrolled: 2-line block ×6, first 2 shown]
	v_sub_f16_e32 v12, v10, v12
	v_sub_f16_e32 v25, v22, v73
	;; [unrolled: 1-line block ×12, first 2 shown]
	v_fma_f16 v10, v10, 2.0, -v12
	v_fma_f16 v22, v22, 2.0, -v25
	v_fma_f16 v11, v11, 2.0, -v13
	v_fma_f16 v26, v26, 2.0, -v27
	v_fma_f16 v14, v14, 2.0, -v16
	v_fma_f16 v28, v28, 2.0, -v29
	v_fma_f16 v15, v15, 2.0, -v17
	v_fma_f16 v30, v30, 2.0, -v31
	v_fma_f16 v18, v18, 2.0, -v20
	v_fma_f16 v32, v32, 2.0, -v33
	v_fma_f16 v19, v19, 2.0, -v21
	v_fma_f16 v34, v34, 2.0, -v35
	v_pack_b32_f16 v12, v12, v25
	v_pack_b32_f16 v10, v10, v22
	;; [unrolled: 1-line block ×12, first 2 shown]
	ds_store_2addr_b32 v65, v10, v12 offset1:2
	ds_store_2addr_b32 v66, v11, v13 offset1:2
	;; [unrolled: 1-line block ×6, first 2 shown]
	global_wb scope:SCOPE_SE
	s_wait_dscnt 0x0
	s_barrier_signal -1
	s_barrier_wait -1
	global_inv scope:SCOPE_SE
	global_load_b32 v64, v24, s[10:11] offset:8
	v_and_or_b32 v10, 0x78, v4, v23
	v_and_or_b32 v25, 0xf8, v6, v23
	;; [unrolled: 1-line block ×5, first 2 shown]
	v_lshlrev_b32_e32 v73, 2, v10
	ds_load_2addr_b32 v[10:11], v39 offset1:56
	ds_load_2addr_b32 v[12:13], v82 offset0:80 offset1:136
	ds_load_2addr_b32 v[14:15], v39 offset0:112 offset1:168
	;; [unrolled: 1-line block ×5, first 2 shown]
	v_lshlrev_b32_e32 v75, 2, v25
	v_lshlrev_b32_e32 v77, 2, v27
	v_and_or_b32 v23, 0x2f8, v9, v23
	v_lshlrev_b32_e32 v76, 2, v26
	v_lshlrev_b32_e32 v78, 2, v28
	v_and_b32_e32 v22, 7, v55
	global_wb scope:SCOPE_SE
	s_wait_loadcnt_dscnt 0x0
	v_lshlrev_b32_e32 v79, 2, v23
	s_barrier_signal -1
	s_barrier_wait -1
	v_lshlrev_b32_e32 v24, 2, v22
	global_inv scope:SCOPE_SE
	v_lshrrev_b32_e32 v23, 16, v10
	v_lshrrev_b32_e32 v25, 16, v12
	;; [unrolled: 1-line block ×13, first 2 shown]
	s_delay_alu instid0(VALU_DEP_1)
	v_mul_f16_e32 v74, v25, v81
	v_mul_f16_e32 v85, v12, v81
	;; [unrolled: 1-line block ×12, first 2 shown]
	v_fma_f16 v12, v12, v64, -v74
	v_fmac_f16_e32 v85, v25, v64
	v_fma_f16 v13, v13, v64, -v84
	v_fmac_f16_e32 v88, v27, v64
	;; [unrolled: 2-line block ×6, first 2 shown]
	v_sub_f16_e32 v12, v10, v12
	v_sub_f16_e32 v25, v23, v85
	v_sub_f16_e32 v13, v11, v13
	v_sub_f16_e32 v27, v26, v88
	v_sub_f16_e32 v16, v14, v16
	v_sub_f16_e32 v29, v28, v89
	v_sub_f16_e32 v17, v15, v17
	v_sub_f16_e32 v31, v30, v90
	v_sub_f16_e32 v20, v18, v20
	v_sub_f16_e32 v33, v32, v92
	v_sub_f16_e32 v21, v19, v21
	v_sub_f16_e32 v34, v35, v94
	v_fma_f16 v10, v10, 2.0, -v12
	v_fma_f16 v23, v23, 2.0, -v25
	v_fma_f16 v11, v11, 2.0, -v13
	v_fma_f16 v26, v26, 2.0, -v27
	v_fma_f16 v14, v14, 2.0, -v16
	v_fma_f16 v28, v28, 2.0, -v29
	v_fma_f16 v15, v15, 2.0, -v17
	v_fma_f16 v30, v30, 2.0, -v31
	v_fma_f16 v18, v18, 2.0, -v20
	v_fma_f16 v32, v32, 2.0, -v33
	v_fma_f16 v19, v19, 2.0, -v21
	v_fma_f16 v35, v35, 2.0, -v34
	v_pack_b32_f16 v12, v12, v25
	v_pack_b32_f16 v10, v10, v23
	;; [unrolled: 1-line block ×12, first 2 shown]
	ds_store_2addr_b32 v73, v10, v12 offset1:4
	ds_store_2addr_b32 v75, v11, v13 offset1:4
	;; [unrolled: 1-line block ×6, first 2 shown]
	global_wb scope:SCOPE_SE
	s_wait_dscnt 0x0
	s_barrier_signal -1
	s_barrier_wait -1
	global_inv scope:SCOPE_SE
	global_load_b32 v74, v24, s[10:11] offset:24
	v_and_or_b32 v10, 0x70, v4, v22
	ds_load_2addr_b32 v[12:13], v82 offset0:192 offset1:248
	ds_load_2addr_b32 v[14:15], v3 offset0:48 offset1:104
	v_and_or_b32 v20, 0xf0, v6, v22
	ds_load_2addr_b32 v[16:17], v39 offset1:56
	v_lshlrev_b32_e32 v86, 2, v10
	ds_load_2addr_b32 v[10:11], v82 offset0:80 offset1:136
	ds_load_2addr_b32 v[18:19], v39 offset0:112 offset1:168
	v_lshlrev_b32_e32 v91, 2, v20
	ds_load_2addr_b32 v[20:21], v83 offset0:96 offset1:152
	v_and_or_b32 v27, 0x1f0, v5, v22
	v_and_or_b32 v28, 0x1f0, v7, v22
	;; [unrolled: 1-line block ×4, first 2 shown]
	v_and_b32_e32 v23, 15, v55
	v_lshlrev_b32_e32 v92, 2, v27
	v_lshlrev_b32_e32 v93, 2, v28
	;; [unrolled: 1-line block ×4, first 2 shown]
	v_and_b32_e32 v25, 15, v117
	v_and_b32_e32 v26, 15, v119
	s_wait_dscnt 0x5
	v_lshrrev_b32_e32 v28, 16, v12
	v_lshrrev_b32_e32 v29, 16, v13
	s_wait_dscnt 0x4
	v_lshrrev_b32_e32 v32, 16, v14
	v_lshrrev_b32_e32 v33, 16, v15
	s_wait_dscnt 0x3
	v_lshrrev_b32_e32 v34, 16, v16
	s_wait_dscnt 0x2
	v_lshrrev_b32_e32 v22, 16, v10
	v_lshrrev_b32_e32 v27, 16, v11
	;; [unrolled: 1-line block ×3, first 2 shown]
	s_wait_dscnt 0x1
	v_lshrrev_b32_e32 v84, 16, v18
	v_lshrrev_b32_e32 v85, 16, v19
	s_wait_dscnt 0x0
	v_lshrrev_b32_e32 v87, 16, v20
	v_lshrrev_b32_e32 v88, 16, v21
	v_lshlrev_b32_e32 v24, 2, v23
	v_lshlrev_b32_e32 v30, 2, v25
	;; [unrolled: 1-line block ×3, first 2 shown]
	global_wb scope:SCOPE_SE
	s_wait_loadcnt 0x0
	s_barrier_signal -1
	s_barrier_wait -1
	global_inv scope:SCOPE_SE
	v_and_or_b32 v4, 0x60, v4, v23
	v_lshrrev_b32_e32 v96, 16, v74
	s_delay_alu instid0(VALU_DEP_1)
	v_mul_f16_e32 v89, v22, v96
	v_mul_f16_e32 v90, v10, v96
	;; [unrolled: 1-line block ×12, first 2 shown]
	v_fma_f16 v10, v10, v74, -v89
	v_fmac_f16_e32 v90, v22, v74
	v_fma_f16 v11, v11, v74, -v97
	v_fmac_f16_e32 v98, v27, v74
	v_fma_f16 v12, v12, v74, -v99
	v_fmac_f16_e32 v100, v28, v74
	v_fma_f16 v13, v13, v74, -v101
	v_fmac_f16_e32 v104, v29, v74
	v_fma_f16 v14, v14, v74, -v102
	v_fmac_f16_e32 v105, v32, v74
	v_fma_f16 v15, v15, v74, -v103
	v_fmac_f16_e32 v106, v33, v74
	v_sub_f16_e32 v10, v16, v10
	v_sub_f16_e32 v22, v34, v90
	;; [unrolled: 1-line block ×12, first 2 shown]
	v_fma_f16 v16, v16, 2.0, -v10
	v_fma_f16 v34, v34, 2.0, -v22
	;; [unrolled: 1-line block ×3, first 2 shown]
	v_pack_b32_f16 v10, v10, v22
	v_fma_f16 v22, v35, 2.0, -v27
	v_fma_f16 v18, v18, 2.0, -v12
	v_pack_b32_f16 v11, v11, v27
	v_fma_f16 v27, v84, 2.0, -v28
	v_fma_f16 v19, v19, 2.0, -v13
	;; [unrolled: 3-line block ×4, first 2 shown]
	v_fma_f16 v35, v88, 2.0, -v33
	v_pack_b32_f16 v16, v16, v34
	v_pack_b32_f16 v17, v17, v22
	;; [unrolled: 1-line block ×8, first 2 shown]
	ds_store_2addr_b32 v86, v16, v10 offset1:8
	ds_store_2addr_b32 v91, v17, v11 offset1:8
	;; [unrolled: 1-line block ×6, first 2 shown]
	v_and_b32_e32 v10, 15, v2
	global_wb scope:SCOPE_SE
	s_wait_dscnt 0x0
	s_barrier_signal -1
	s_barrier_wait -1
	global_inv scope:SCOPE_SE
	s_clause 0x4
	global_load_b32 v84, v24, s[10:11] offset:56
	global_load_b32 v85, v30, s[10:11] offset:56
	global_load_u16 v87, v31, s[10:11] offset:58
	global_load_u16 v89, v30, s[10:11] offset:58
	global_load_u16 v88, v31, s[10:11] offset:56
	v_lshlrev_b32_e32 v11, 2, v10
	v_lshlrev_b32_e32 v97, 2, v4
	v_and_or_b32 v20, 0xe0, v6, v10
	v_and_or_b32 v21, 0x1e0, v7, v26
	;; [unrolled: 1-line block ×3, first 2 shown]
	global_load_u16 v90, v11, s[10:11] offset:56
	ds_load_2addr_b32 v[6:7], v82 offset0:80 offset1:136
	ds_load_2addr_b32 v[9:10], v39 offset1:56
	v_and_or_b32 v24, 0x1e0, v5, v23
	ds_load_2addr_b32 v[4:5], v82 offset0:192 offset1:248
	ds_load_2addr_b32 v[11:12], v3 offset0:48 offset1:104
	;; [unrolled: 1-line block ×4, first 2 shown]
	v_and_or_b32 v23, 0x3e0, v120, v23
	v_lshlrev_b32_e32 v98, 2, v20
	v_lshlrev_b32_e32 v102, 2, v22
	;; [unrolled: 1-line block ×5, first 2 shown]
	v_and_b32_e32 v17, 31, v55
	v_and_b32_e32 v19, 31, v2
	;; [unrolled: 1-line block ×4, first 2 shown]
	global_wb scope:SCOPE_SE
	s_wait_loadcnt_dscnt 0x0
	v_lshlrev_b32_e32 v18, 3, v17
	v_lshlrev_b32_e32 v25, 3, v19
	v_lshrrev_b32_e32 v20, 16, v6
	v_lshrrev_b32_e32 v22, 16, v7
	;; [unrolled: 1-line block ×12, first 2 shown]
	v_lshlrev_b32_e32 v26, 3, v27
	v_lshlrev_b32_e32 v29, 3, v28
	s_barrier_signal -1
	s_barrier_wait -1
	global_inv scope:SCOPE_SE
	v_lshrrev_b32_e32 v103, 16, v84
	v_lshrrev_b32_e32 v104, 16, v85
	v_mul_f16_e32 v106, v23, v87
	v_mul_f16_e32 v107, v5, v87
	;; [unrolled: 1-line block ×8, first 2 shown]
	v_fma_f16 v5, v5, v88, -v106
	v_fma_f16 v12, v12, v85, -v108
	v_fmac_f16_e32 v107, v23, v88
	v_fmac_f16_e32 v109, v30, v85
	v_mul_f16_e32 v106, v24, v103
	v_mul_f16_e32 v114, v4, v103
	;; [unrolled: 1-line block ×4, first 2 shown]
	v_fma_f16 v6, v6, v84, -v110
	v_fmac_f16_e32 v111, v20, v84
	v_fma_f16 v7, v7, v90, -v112
	v_fmac_f16_e32 v113, v22, v90
	v_sub_f16_e32 v20, v33, v107
	v_sub_f16_e32 v5, v14, v5
	;; [unrolled: 1-line block ×4, first 2 shown]
	v_fma_f16 v4, v4, v84, -v106
	v_fmac_f16_e32 v114, v24, v84
	v_fma_f16 v11, v11, v84, -v108
	v_fmac_f16_e32 v115, v31, v84
	v_sub_f16_e32 v6, v9, v6
	v_sub_f16_e32 v23, v21, v111
	;; [unrolled: 1-line block ×3, first 2 shown]
	v_fma_f16 v24, v33, 2.0, -v20
	v_pack_b32_f16 v20, v5, v20
	v_fma_f16 v5, v14, 2.0, -v5
	v_fma_f16 v14, v35, 2.0, -v22
	v_pack_b32_f16 v22, v12, v22
	v_fma_f16 v12, v16, 2.0, -v12
	v_sub_f16_e32 v16, v32, v113
	v_sub_f16_e32 v4, v13, v4
	;; [unrolled: 1-line block ×5, first 2 shown]
	v_fma_f16 v9, v9, 2.0, -v6
	v_fma_f16 v21, v21, 2.0, -v23
	v_pack_b32_f16 v6, v6, v23
	v_fma_f16 v10, v10, 2.0, -v7
	v_fma_f16 v23, v32, 2.0, -v16
	;; [unrolled: 1-line block ×3, first 2 shown]
	v_pack_b32_f16 v7, v7, v16
	v_fma_f16 v16, v34, 2.0, -v30
	v_fma_f16 v15, v15, 2.0, -v11
	v_pack_b32_f16 v5, v5, v24
	v_fma_f16 v24, v105, 2.0, -v31
	v_pack_b32_f16 v9, v9, v21
	v_pack_b32_f16 v10, v10, v23
	;; [unrolled: 1-line block ×7, first 2 shown]
	ds_store_2addr_b32 v97, v9, v6 offset1:16
	ds_store_2addr_b32 v98, v10, v7 offset1:16
	;; [unrolled: 1-line block ×6, first 2 shown]
	global_wb scope:SCOPE_SE
	s_wait_dscnt 0x0
	s_barrier_signal -1
	s_barrier_wait -1
	global_inv scope:SCOPE_SE
	s_clause 0x3
	global_load_b64 v[15:16], v18, s[10:11] offset:120
	global_load_b64 v[13:14], v25, s[10:11] offset:120
	;; [unrolled: 1-line block ×4, first 2 shown]
	v_lshrrev_b32_e32 v4, 5, v55
	v_lshrrev_b32_e32 v5, 5, v2
	;; [unrolled: 1-line block ×4, first 2 shown]
	s_delay_alu instid0(VALU_DEP_4) | instskip(NEXT) | instid1(VALU_DEP_4)
	v_mul_u32_u24_e32 v4, 0x60, v4
	v_mul_u32_u24_e32 v20, 0x60, v5
	s_delay_alu instid0(VALU_DEP_4)
	v_mul_u32_u24_e32 v26, 0x60, v6
	ds_load_2addr_b32 v[6:7], v82 offset0:192 offset1:248
	v_mul_u32_u24_e32 v29, 0x60, v18
	v_or_b32_e32 v23, v4, v17
	ds_load_2addr_b32 v[4:5], v83 offset0:96 offset1:152
	ds_load_2addr_b32 v[17:18], v39 offset1:56
	v_or_b32_e32 v30, v20, v19
	ds_load_2addr_b32 v[19:20], v82 offset0:80 offset1:136
	ds_load_2addr_b32 v[21:22], v3 offset0:48 offset1:104
	;; [unrolled: 1-line block ×3, first 2 shown]
	v_or_b32_e32 v3, v26, v27
	v_or_b32_e32 v26, v29, v28
	v_lshlrev_b32_e32 v108, 2, v23
	v_lshlrev_b32_e32 v107, 2, v30
	global_wb scope:SCOPE_SE
	s_wait_loadcnt_dscnt 0x0
	v_lshlrev_b32_e32 v106, 2, v3
	v_lshlrev_b32_e32 v105, 2, v26
	s_barrier_signal -1
	s_barrier_wait -1
	global_inv scope:SCOPE_SE
	v_lshrrev_b32_e32 v26, 16, v6
	v_lshrrev_b32_e32 v27, 16, v7
	;; [unrolled: 1-line block ×20, first 2 shown]
	v_mul_f16_e32 v34, v3, v115
	v_mul_f16_e32 v121, v4, v115
	;; [unrolled: 1-line block ×9, first 2 shown]
	v_mul_f16_e64 v130, v21, v111
	v_mul_f16_e64 v131, v28, v112
	;; [unrolled: 1-line block ×7, first 2 shown]
	v_fma_f16 v4, v4, v15, -v34
	v_fma_f16 v6, v6, v16, -v123
	v_fmac_f16_e32 v122, v23, v13
	v_fmac_f16_e32 v125, v27, v14
	;; [unrolled: 1-line block ×4, first 2 shown]
	v_fma_f16 v5, v5, v13, -v35
	v_fma_f16 v7, v7, v14, -v124
	v_fmac_f16_e32 v127, v28, v11
	v_fmac_f16_e64 v130, v29, v12
	v_fma_f16 v3, v19, v11, -v131
	v_fma_f16 v19, v21, v12, -v132
	;; [unrolled: 1-line block ×4, first 2 shown]
	v_fmac_f16_e64 v134, v32, v9
	v_fmac_f16_e64 v136, v33, v10
	v_add_f16_e32 v26, v122, v125
	v_add_f16_e32 v28, v4, v6
	;; [unrolled: 1-line block ×7, first 2 shown]
	v_sub_f16_e32 v29, v122, v125
	v_sub_f16_e32 v35, v121, v126
	v_add_f16_e64 v121, v129, v127
	v_sub_f16_e64 v122, v127, v130
	v_add_f16_e64 v123, v127, v130
	v_add_f16_e32 v127, v3, v19
	v_add_f16_e64 v131, v20, v21
	v_add_f16_e64 v135, v134, v136
	v_add_f16_e32 v23, v18, v5
	v_sub_f16_e32 v5, v5, v7
	v_sub_f16_e32 v4, v4, v6
	v_fmac_f16_e32 v30, -0.5, v26
	v_fma_f16 v17, -0.5, v28, v17
	v_add_f16_e32 v6, v32, v6
	v_add_f16_e32 v26, v33, v126
	v_fmac_f16_e32 v31, -0.5, v34
	v_add_f16_e32 v124, v24, v3
	v_fmac_f16_e32 v18, -0.5, v22
	v_sub_f16_e32 v3, v3, v19
	v_add_f16_e64 v132, v25, v20
	v_add_f16_e64 v133, v128, v134
	v_sub_f16_e64 v134, v134, v136
	v_sub_f16_e32 v20, v20, v21
	v_fmac_f16_e64 v129, -0.5, v123
	v_fma_f16 v22, -0.5, v127, v24
	v_fmac_f16_e64 v25, -0.5, v131
	v_fmac_f16_e64 v128, -0.5, v135
	v_fmamk_f16 v32, v5, 0xbaee, v30
	v_fmac_f16_e32 v30, 0x3aee, v5
	v_pack_b32_f16 v5, v6, v26
	v_fmamk_f16 v6, v35, 0x3aee, v17
	v_fmamk_f16 v26, v4, 0xbaee, v31
	v_fmac_f16_e32 v17, 0xbaee, v35
	v_fmac_f16_e32 v31, 0x3aee, v4
	v_add_f16_e32 v7, v23, v7
	v_add_f16_e32 v23, v27, v125
	v_add_f16_e64 v27, v121, v130
	v_add_f16_e32 v19, v124, v19
	v_fmamk_f16 v24, v29, 0x3aee, v18
	v_fmac_f16_e32 v18, 0xbaee, v29
	v_add_f16_e64 v28, v132, v21
	v_fmamk_f16 v21, v122, 0x3aee, v22
	v_fma_f16 v127, 0xbaee, v3, v129
	v_fma_f16 v29, 0x3aee, v134, v25
	;; [unrolled: 1-line block ×3, first 2 shown]
	v_fmac_f16_e64 v25, 0xbaee, v134
	v_fmac_f16_e64 v128, 0x3aee, v20
	v_add_f16_e64 v130, v133, v136
	v_fmac_f16_e32 v22, 0xbaee, v122
	v_fmac_f16_e64 v129, 0x3aee, v3
	v_pack_b32_f16 v6, v6, v26
	v_pack_b32_f16 v17, v17, v31
	;; [unrolled: 1-line block ×11, first 2 shown]
	ds_store_2addr_b32 v108, v5, v6 offset1:32
	ds_store_b32 v108, v17 offset:256
	ds_store_2addr_b32 v107, v4, v19 offset1:32
	ds_store_b32 v107, v18 offset:256
	;; [unrolled: 2-line block ×4, first 2 shown]
	global_wb scope:SCOPE_SE
	s_wait_dscnt 0x0
	s_barrier_signal -1
	s_barrier_wait -1
	global_inv scope:SCOPE_SE
	ds_load_b32 v135, v39 offset:2304
	ds_load_2addr_b32 v[26:27], v39 offset1:96
	ds_load_2addr_b32 v[34:35], v83 offset0:64 offset1:160
	ds_load_2addr_b32 v[32:33], v82 offset0:128 offset1:224
	v_add_co_u32 v23, s0, s8, v39
	s_wait_alu 0xf1ff
	v_add_co_ci_u32_e64 v24, null, s9, 0, s0
                                        ; implicit-def: $vgpr133
                                        ; implicit-def: $vgpr132
                                        ; implicit-def: $vgpr134
                                        ; implicit-def: $vgpr31
	s_and_saveexec_b32 s0, vcc_lo
	s_cbranch_execz .LBB0_3
; %bb.2:
	ds_load_2addr_b32 v[21:22], v39 offset0:56 offset1:152
	ds_load_2addr_b32 v[28:29], v83 offset0:120 offset1:216
	ds_load_2addr_b32 v[30:31], v1 offset0:56 offset1:152
	ds_load_b32 v132, v39 offset:2528
	s_wait_dscnt 0x3
	v_lshrrev_b32_e32 v127, 16, v21
	v_lshrrev_b32_e32 v129, 16, v22
	s_wait_dscnt 0x2
	v_lshrrev_b32_e32 v130, 16, v28
	v_lshrrev_b32_e32 v131, 16, v29
	;; [unrolled: 3-line block ×3, first 2 shown]
	s_wait_dscnt 0x0
	v_lshrrev_b32_e32 v134, 16, v132
	v_mov_b32_e32 v25, v30
.LBB0_3:
	s_wait_alu 0xfffe
	s_or_b32 exec_lo, exec_lo, s0
	v_mad_co_u64_u32 v[0:1], null, v55, 24, s[10:11]
	v_lshlrev_b32_e32 v126, 3, v118
	v_lshlrev_b32_e32 v124, 2, v120
	;; [unrolled: 1-line block ×3, first 2 shown]
	s_wait_dscnt 0x2
	v_lshrrev_b32_e32 v30, 16, v27
	s_wait_dscnt 0x1
	v_lshrrev_b32_e32 v137, 16, v34
	v_lshrrev_b32_e32 v138, 16, v35
	s_clause 0x1
	global_load_b128 v[4:7], v[0:1], off offset:376
	global_load_b64 v[19:20], v[0:1], off offset:392
	v_subrev_nc_u32_e32 v0, 40, v55
	s_wait_dscnt 0x0
	v_lshrrev_b32_e32 v139, 16, v32
	v_lshrrev_b32_e32 v140, 16, v33
	;; [unrolled: 1-line block ×3, first 2 shown]
	v_dual_cndmask_b32 v0, v0, v2 :: v_dual_lshlrev_b32 v125, 3, v119
	v_lshrrev_b32_e32 v136, 16, v26
	s_delay_alu instid0(VALU_DEP_2) | instskip(SKIP_1) | instid1(VALU_DEP_2)
	v_mul_i32_i24_e32 v1, 24, v0
	v_mul_hi_i32_i24_e32 v0, 24, v0
	v_add_co_u32 v17, s0, s10, v1
	s_wait_alu 0xf1ff
	s_delay_alu instid0(VALU_DEP_2)
	v_add_co_ci_u32_e64 v18, s0, s11, v0, s0
	s_clause 0x1
	global_load_b128 v[0:3], v[17:18], off offset:376
	global_load_b64 v[17:18], v[17:18], off offset:392
	s_wait_loadcnt 0x3
	v_lshrrev_b32_e32 v122, 16, v4
	v_lshrrev_b32_e32 v121, 16, v5
	;; [unrolled: 1-line block ×4, first 2 shown]
	s_wait_loadcnt 0x2
	v_lshrrev_b32_e32 v117, 16, v19
	v_lshrrev_b32_e32 v119, 16, v20
	v_mul_f16_e64 v142, v30, v122
	v_mul_f16_e64 v143, v27, v122
	;; [unrolled: 1-line block ×12, first 2 shown]
	v_fma_f16 v142, v27, v4, -v142
	v_fmac_f16_e64 v143, v30, v4
	v_fma_f16 v144, v34, v5, -v144
	v_fmac_f16_e64 v145, v137, v5
	;; [unrolled: 2-line block ×6, first 2 shown]
	s_wait_loadcnt 0x1
	v_lshrrev_b32_e32 v34, 16, v0
	v_lshrrev_b32_e32 v32, 16, v1
	;; [unrolled: 1-line block ×3, first 2 shown]
	s_wait_loadcnt 0x0
	v_lshrrev_b32_e32 v33, 16, v17
	v_lshrrev_b32_e32 v35, 16, v18
	;; [unrolled: 1-line block ×3, first 2 shown]
	v_add_f16_e64 v140, v142, v135
	v_add_f16_e64 v141, v143, v153
	v_sub_f16_e64 v135, v142, v135
	v_sub_f16_e64 v142, v143, v153
	v_add_f16_e64 v143, v144, v139
	v_add_f16_e64 v146, v145, v151
	v_sub_f16_e64 v139, v144, v139
	v_sub_f16_e64 v144, v145, v151
	;; [unrolled: 4-line block ×3, first 2 shown]
	v_mul_f16_e64 v147, v129, v34
	v_mul_f16_e64 v149, v22, v34
	;; [unrolled: 1-line block ×12, first 2 shown]
	v_add_f16_e64 v160, v143, v140
	v_add_f16_e64 v161, v146, v141
	v_sub_f16_e64 v163, v146, v141
	v_sub_f16_e64 v141, v141, v148
	v_add_f16_e64 v164, v137, v139
	v_add_f16_e64 v165, v138, v144
	v_sub_f16_e64 v166, v137, v139
	v_sub_f16_e64 v167, v138, v144
	;; [unrolled: 1-line block ×4, first 2 shown]
	v_fma_f16 v22, v22, v0, -v147
	v_fmac_f16_e64 v149, v129, v0
	v_fma_f16 v28, v28, v1, -v150
	v_fmac_f16_e64 v151, v130, v1
	v_fmac_f16_e64 v155, v128, v3
	v_fma_f16 v31, v31, v17, -v156
	v_fmac_f16_e64 v157, v133, v17
	v_fma_f16 v128, v132, v18, -v158
	v_fmac_f16_e64 v159, v134, v18
	v_sub_f16_e64 v162, v143, v140
	v_sub_f16_e64 v140, v140, v145
	v_sub_f16_e64 v143, v145, v143
	v_sub_f16_e64 v146, v148, v146
	v_sub_f16_e64 v137, v135, v137
	v_sub_f16_e64 v138, v142, v138
	v_fma_f16 v29, v29, v2, -v152
	v_fmac_f16_e64 v153, v131, v2
	v_fma_f16 v25, v25, v3, -v154
	v_add_f16_e64 v130, v145, v160
	v_add_f16_e64 v131, v148, v161
	;; [unrolled: 1-line block ×3, first 2 shown]
	v_mul_f16_e64 v134, 0x3a52, v141
	v_mul_f16_e64 v141, 0xb846, v166
	;; [unrolled: 1-line block ×5, first 2 shown]
	v_add_f16_e64 v148, v22, v128
	v_add_f16_e64 v150, v149, v159
	;; [unrolled: 1-line block ×5, first 2 shown]
	v_mul_f16_e64 v129, 0x3a52, v140
	v_mul_f16_e64 v135, 0x2b26, v143
	;; [unrolled: 1-line block ×3, first 2 shown]
	v_sub_f16_e64 v22, v22, v128
	v_sub_f16_e64 v149, v149, v159
	v_sub_f16_e32 v28, v28, v31
	v_sub_f16_e64 v31, v151, v157
	v_add_f16_e64 v151, v29, v25
	v_add_f16_e64 v156, v153, v155
	v_sub_f16_e32 v29, v25, v29
	v_sub_f16_e64 v153, v155, v153
	v_add_f16_e64 v155, v26, v130
	v_add_f16_e64 v136, v136, v131
	v_fma_f16 v158, 0x3574, v137, v141
	v_fma_f16 v159, 0x3574, v138, v142
	v_fma_f16 v142, v144, 0x3b00, -v142
	v_fma_f16 v144, v137, 0xb574, -v145
	;; [unrolled: 1-line block ×3, first 2 shown]
	v_add_f16_e64 v137, v152, v148
	v_add_f16_e64 v138, v154, v150
	v_fma_f16 v143, 0x2b26, v143, v129
	v_fma_f16 v146, 0x2b26, v146, v134
	v_fma_f16 v135, v162, 0x39e0, -v135
	v_fma_f16 v140, v163, 0x39e0, -v140
	;; [unrolled: 1-line block ×5, first 2 shown]
	v_sub_f16_e64 v25, v152, v148
	v_sub_f16_e64 v128, v154, v150
	;; [unrolled: 1-line block ×6, first 2 shown]
	v_add_f16_e64 v148, v29, v28
	v_add_f16_e64 v150, v153, v31
	v_sub_f16_e64 v152, v29, v28
	v_sub_f16_e64 v154, v153, v31
	v_sub_f16_e32 v28, v28, v22
	v_sub_f16_e64 v31, v31, v149
	v_fma_f16 v160, 0xbcab, v130, v155
	v_fma_f16 v161, 0xbcab, v131, v136
	v_add_f16_e64 v151, v151, v137
	v_add_f16_e64 v156, v156, v138
	v_sub_f16_e32 v29, v22, v29
	v_sub_f16_e64 v153, v149, v153
	v_fmac_f16_e64 v158, 0x370e, v132
	v_fmac_f16_e64 v159, 0x370e, v133
	;; [unrolled: 1-line block ×6, first 2 shown]
	v_pack_b32_f16 v155, v155, v136
	v_add_f16_e64 v137, v148, v22
	v_mul_f16_e64 v22, 0x3a52, v139
	v_mul_f16_e64 v133, 0x3a52, v147
	;; [unrolled: 1-line block ×6, first 2 shown]
	v_add_f16_e64 v28, v143, v160
	v_add_f16_e64 v31, v146, v161
	;; [unrolled: 1-line block ×9, first 2 shown]
	v_fma_f16 v148, 0x2b26, v26, v22
	v_fma_f16 v149, 0x2b26, v129, v133
	v_fma_f16 v22, v25, 0xb9e0, -v22
	v_fma_f16 v150, v128, 0xb9e0, -v133
	v_fma_f16 v133, 0x3574, v29, v136
	v_fma_f16 v134, 0x3574, v153, v131
	v_fma_f16 v138, v29, 0xb574, -v139
	v_fma_f16 v135, v153, 0xb574, -v132
	v_add_f16_e64 v29, v159, v28
	v_sub_f16_e64 v152, v31, v158
	v_add_f16_e64 v153, v145, v146
	v_sub_f16_e64 v154, v147, v144
	v_sub_f16_e64 v157, v143, v142
	v_add_f16_e64 v160, v141, v140
	v_add_f16_e64 v142, v142, v143
	v_sub_f16_e64 v143, v140, v141
	v_sub_f16_e64 v145, v146, v145
	v_add_f16_e64 v144, v144, v147
	v_fma_f16 v140, 0xbcab, v151, v21
	v_fma_f16 v141, 0xbcab, v156, v127
	v_sub_f16_e64 v28, v28, v159
	v_add_f16_e64 v31, v158, v31
	v_fmac_f16_e64 v133, 0x370e, v137
	v_fmac_f16_e64 v134, 0x370e, v130
	;; [unrolled: 1-line block ×4, first 2 shown]
	v_pack_b32_f16 v146, v29, v152
	v_pack_b32_f16 v147, v153, v154
	;; [unrolled: 1-line block ×4, first 2 shown]
	v_add_f16_e64 v142, v22, v140
	v_add_f16_e64 v145, v150, v141
	;; [unrolled: 1-line block ×4, first 2 shown]
	v_pack_b32_f16 v148, v28, v31
	v_sub_f16_e64 v22, v142, v135
	v_add_f16_e64 v28, v138, v145
	v_sub_f16_e64 v29, v143, v134
	v_add_f16_e64 v31, v133, v144
	v_pack_b32_f16 v151, v157, v160
	ds_store_2addr_b32 v39, v155, v146 offset1:96
	ds_store_2addr_b32 v83, v147, v151 offset0:64 offset1:160
	ds_store_2addr_b32 v82, v152, v153 offset0:128 offset1:224
	ds_store_b32 v39, v148 offset:2304
	s_and_saveexec_b32 s0, vcc_lo
	s_cbranch_execz .LBB0_5
; %bb.4:
	v_mul_f16_e64 v82, 0x2b26, v129
	v_mul_f16_e64 v83, 0x39e0, v128
	;; [unrolled: 1-line block ×3, first 2 shown]
	v_sub_f16_e64 v129, v139, v136
	v_mul_f16_e32 v26, 0x2b26, v26
	v_mul_f16_e32 v25, 0x39e0, v25
	v_sub_f16_e32 v82, v83, v82
	v_mul_f16_e64 v83, 0x370e, v130
	v_add_f16_e64 v128, v128, v129
	v_sub_f16_e64 v129, v132, v131
	v_sub_f16_e32 v25, v25, v26
	v_add_f16_e64 v26, v82, v141
	v_add_f16_e64 v130, v134, v143
	;; [unrolled: 1-line block ×5, first 2 shown]
	v_sub_f16_e64 v129, v144, v133
	v_sub_f16_e64 v83, v26, v128
	v_add_f16_e64 v26, v128, v26
	v_sub_f16_e64 v128, v145, v138
	v_sub_f16_e64 v132, v25, v82
	v_add_f16_e32 v25, v82, v25
	v_perm_b32 v21, v127, v21, 0x5040100
	v_pack_b32_f16 v82, v130, v129
	v_pack_b32_f16 v127, v131, v128
	;; [unrolled: 1-line block ×3, first 2 shown]
	v_add_nc_u32_e32 v128, 0x200, v39
	v_pack_b32_f16 v25, v25, v83
	v_perm_b32 v83, v28, v22, 0x5040100
	v_add_nc_u32_e32 v129, 0x600, v39
	v_perm_b32 v130, v31, v29, 0x5040100
	ds_store_2addr_b32 v39, v21, v82 offset0:56 offset1:152
	ds_store_2addr_b32 v128, v127, v26 offset0:120 offset1:216
	;; [unrolled: 1-line block ×3, first 2 shown]
	ds_store_b32 v39, v130 offset:2528
.LBB0_5:
	s_wait_alu 0xfffe
	s_or_b32 exec_lo, exec_lo, s0
	global_wb scope:SCOPE_SE
	s_wait_dscnt 0x0
	s_barrier_signal -1
	s_barrier_wait -1
	global_inv scope:SCOPE_SE
	global_load_b32 v21, v[23:24], off offset:2688
	v_lshlrev_b32_e32 v23, 2, v55
	s_add_nc_u64 s[0:1], s[8:9], 0xa80
	s_clause 0xa
	global_load_b32 v26, v23, s[0:1] offset:224
	global_load_b32 v135, v23, s[0:1] offset:1344
	global_load_b32 v136, v23, s[0:1] offset:1568
	global_load_b32 v137, v23, s[0:1] offset:448
	global_load_b32 v138, v23, s[0:1] offset:1792
	global_load_b32 v139, v23, s[0:1] offset:672
	global_load_b32 v140, v23, s[0:1] offset:2016
	global_load_b32 v141, v23, s[0:1] offset:896
	global_load_b32 v142, v23, s[0:1] offset:2240
	global_load_b32 v143, v23, s[0:1] offset:1120
	global_load_b32 v144, v23, s[0:1] offset:2464
	ds_load_2addr_b32 v[23:24], v39 offset1:56
	s_wait_dscnt 0x0
	v_lshrrev_b32_e32 v25, 16, v23
	v_lshrrev_b32_e32 v133, 16, v24
	s_wait_loadcnt 0xa
	v_lshrrev_b32_e32 v134, 16, v26
	s_wait_loadcnt 0x9
	;; [unrolled: 2-line block ×4, first 2 shown]
	v_lshrrev_b32_e32 v147, 16, v137
	v_lshrrev_b32_e32 v82, 16, v21
	v_mul_f16_e64 v149, v24, v134
	s_wait_loadcnt 0x6
	v_lshrrev_b32_e32 v148, 16, v138
	s_wait_loadcnt 0x5
	v_lshrrev_b32_e32 v150, 16, v139
	;; [unrolled: 2-line block ×3, first 2 shown]
	v_mul_f16_e32 v83, v25, v82
	v_mul_f16_e32 v127, v23, v82
	v_add_nc_u32_e32 v82, 0x400, v39
	v_fmac_f16_e64 v149, v133, v26
	s_wait_loadcnt 0x2
	v_lshrrev_b32_e32 v153, 16, v142
	v_fma_f16 v23, v23, v21, -v83
	v_fmac_f16_e32 v127, v25, v21
	v_add_nc_u32_e32 v83, 0x200, v39
	v_add_nc_u32_e32 v25, 0x800, v39
	s_wait_loadcnt 0x1
	v_lshrrev_b32_e32 v154, 16, v143
	s_wait_loadcnt 0x0
	v_lshrrev_b32_e32 v155, 16, v144
	v_pack_b32_f16 v23, v23, v127
	v_add_nc_u32_e32 v21, 0x600, v39
	ds_store_b32 v39, v23
	v_mul_f16_e64 v23, v133, v134
	ds_load_2addr_b32 v[129:130], v39 offset0:112 offset1:168
	ds_load_2addr_b32 v[127:128], v82 offset0:80 offset1:136
	;; [unrolled: 1-line block ×4, first 2 shown]
	v_fma_f16 v152, v24, v26, -v23
	ds_load_2addr_b32 v[23:24], v83 offset0:96 offset1:152
	v_lshrrev_b32_e32 v26, 16, v141
	v_pack_b32_f16 v149, v152, v149
	s_wait_dscnt 0x4
	v_lshrrev_b32_e32 v159, 16, v129
	s_wait_dscnt 0x3
	v_lshrrev_b32_e32 v157, 16, v128
	;; [unrolled: 2-line block ×3, first 2 shown]
	v_lshrrev_b32_e32 v163, 16, v130
	v_lshrrev_b32_e32 v152, 16, v127
	s_wait_dscnt 0x0
	v_lshrrev_b32_e32 v167, 16, v23
	v_mul_f16_e64 v156, v127, v145
	v_lshrrev_b32_e32 v165, 16, v132
	v_lshrrev_b32_e32 v169, 16, v133
	;; [unrolled: 1-line block ×4, first 2 shown]
	v_mul_f16_e64 v160, v129, v147
	v_mul_f16_e64 v147, v159, v147
	;; [unrolled: 1-line block ×13, first 2 shown]
	v_fmac_f16_e64 v156, v152, v135
	v_mul_f16_e64 v151, v165, v151
	v_mul_f16_e64 v152, v169, v153
	v_mul_f16_e64 v172, v24, v154
	v_mul_f16_e64 v174, v134, v155
	v_mul_f16_e64 v153, v171, v154
	v_mul_f16_e64 v154, v173, v155
	v_fmac_f16_e64 v160, v159, v137
	v_fma_f16 v129, v129, v137, -v147
	v_fmac_f16_e64 v158, v157, v136
	v_fmac_f16_e64 v162, v161, v138
	v_fma_f16 v128, v128, v136, -v146
	v_fma_f16 v131, v131, v138, -v148
	v_fmac_f16_e64 v164, v163, v139
	v_fmac_f16_e64 v168, v167, v141
	v_fma_f16 v130, v130, v139, -v150
	;; [unrolled: 4-line block ×4, first 2 shown]
	v_fma_f16 v24, v24, v143, -v153
	v_fma_f16 v133, v134, v144, -v154
	v_pack_b32_f16 v129, v129, v160
	v_pack_b32_f16 v128, v128, v158
	;; [unrolled: 1-line block ×10, first 2 shown]
	ds_store_2addr_b32 v39, v149, v129 offset0:56 offset1:112
	ds_store_2addr_b32 v82, v128, v131 offset0:136 offset1:192
	ds_store_2addr_b32 v39, v130, v23 offset0:168 offset1:224
	ds_store_2addr_b32 v21, v132, v26 offset0:120 offset1:176
	ds_store_2addr_b32 v82, v24, v127 offset0:24 offset1:80
	ds_store_b32 v39, v133 offset:2464
	global_wb scope:SCOPE_SE
	s_wait_dscnt 0x0
	s_barrier_signal -1
	s_barrier_wait -1
	global_inv scope:SCOPE_SE
	ds_load_2addr_b32 v[23:24], v39 offset1:56
	ds_load_2addr_b32 v[127:128], v82 offset0:80 offset1:136
	ds_load_2addr_b32 v[129:130], v39 offset0:112 offset1:168
	;; [unrolled: 1-line block ×5, first 2 shown]
	global_wb scope:SCOPE_SE
	s_wait_dscnt 0x0
	s_barrier_signal -1
	s_barrier_wait -1
	global_inv scope:SCOPE_SE
	v_pk_add_f16 v137, v23, v127 neg_lo:[0,1] neg_hi:[0,1]
	v_pk_add_f16 v128, v24, v128 neg_lo:[0,1] neg_hi:[0,1]
	;; [unrolled: 1-line block ×6, first 2 shown]
	v_pk_fma_f16 v136, v23, 2.0, v137 op_sel_hi:[1,0,1] neg_lo:[0,0,1] neg_hi:[0,0,1]
	v_pk_fma_f16 v127, v24, 2.0, v128 op_sel_hi:[1,0,1] neg_lo:[0,0,1] neg_hi:[0,0,1]
	;; [unrolled: 1-line block ×6, first 2 shown]
	ds_store_b64 v72, v[136:137]
	ds_store_b64 v71, v[127:128]
	;; [unrolled: 1-line block ×6, first 2 shown]
	global_wb scope:SCOPE_SE
	s_wait_dscnt 0x0
	s_barrier_signal -1
	s_barrier_wait -1
	global_inv scope:SCOPE_SE
	ds_load_2addr_b32 v[23:24], v39 offset1:56
	ds_load_2addr_b32 v[71:72], v82 offset0:80 offset1:136
	ds_load_2addr_b32 v[123:124], v39 offset0:112 offset1:168
	;; [unrolled: 1-line block ×5, first 2 shown]
	global_wb scope:SCOPE_SE
	s_wait_dscnt 0x0
	s_barrier_signal -1
	s_barrier_wait -1
	global_inv scope:SCOPE_SE
	v_lshrrev_b32_e32 v26, 16, v23
	v_lshrrev_b32_e32 v131, 16, v71
	;; [unrolled: 1-line block ×3, first 2 shown]
	v_mul_f16_e64 v142, v80, v71
	v_lshrrev_b32_e32 v135, 16, v125
	v_mul_f16_e64 v143, v80, v72
	v_lshrrev_b32_e32 v137, 16, v126
	;; [unrolled: 2-line block ×4, first 2 shown]
	v_mul_f16_e64 v148, v80, v131
	v_fma_f16 v131, v63, v131, -v142
	v_mul_f16_e64 v142, v80, v133
	v_fma_f16 v133, v63, v133, -v143
	;; [unrolled: 2-line block ×3, first 2 shown]
	v_mul_f16_e64 v144, v80, v137
	v_mul_f16_e64 v146, v80, v129
	v_fma_f16 v137, v63, v137, -v145
	v_mul_f16_e64 v145, v80, v139
	v_mul_f16_e64 v147, v80, v130
	;; [unrolled: 1-line block ×3, first 2 shown]
	v_fmac_f16_e64 v148, v63, v71
	v_lshrrev_b32_e32 v132, 16, v24
	v_fmac_f16_e64 v142, v63, v72
	v_lshrrev_b32_e32 v134, 16, v123
	v_fmac_f16_e64 v143, v63, v125
	v_lshrrev_b32_e32 v136, 16, v124
	v_fmac_f16_e64 v144, v63, v126
	v_lshrrev_b32_e32 v138, 16, v127
	v_fma_f16 v139, v63, v139, -v146
	v_fmac_f16_e64 v145, v63, v129
	v_lshrrev_b32_e32 v140, 16, v128
	v_fma_f16 v141, v63, v141, -v147
	v_fmac_f16_e64 v80, v63, v130
	v_sub_f16_e64 v63, v26, v131
	v_sub_f16_e64 v130, v23, v148
	v_sub_f16_e64 v71, v132, v133
	v_sub_f16_e64 v131, v24, v142
	v_sub_f16_e64 v72, v134, v135
	v_sub_f16_e64 v133, v123, v143
	v_sub_f16_e64 v125, v136, v137
	v_sub_f16_e64 v135, v124, v144
	v_sub_f16_e64 v126, v138, v139
	v_sub_f16_e64 v137, v127, v145
	v_sub_f16_e64 v129, v140, v141
	v_fma_f16 v26, v26, 2.0, -v63
	v_sub_f16_e64 v80, v128, v80
	v_fma_f16 v23, v23, 2.0, -v130
	v_fma_f16 v132, v132, 2.0, -v71
	;; [unrolled: 1-line block ×11, first 2 shown]
	v_pack_b32_f16 v63, v130, v63
	v_pack_b32_f16 v23, v23, v26
	;; [unrolled: 1-line block ×12, first 2 shown]
	ds_store_2addr_b32 v65, v23, v63 offset1:2
	ds_store_2addr_b32 v66, v24, v71 offset1:2
	;; [unrolled: 1-line block ×6, first 2 shown]
	global_wb scope:SCOPE_SE
	s_wait_dscnt 0x0
	s_barrier_signal -1
	s_barrier_wait -1
	global_inv scope:SCOPE_SE
	ds_load_2addr_b32 v[23:24], v39 offset1:56
	ds_load_2addr_b32 v[65:66], v82 offset0:80 offset1:136
	ds_load_2addr_b32 v[67:68], v39 offset0:112 offset1:168
	;; [unrolled: 1-line block ×5, first 2 shown]
	global_wb scope:SCOPE_SE
	s_wait_dscnt 0x0
	s_barrier_signal -1
	s_barrier_wait -1
	global_inv scope:SCOPE_SE
	v_lshrrev_b32_e32 v26, 16, v23
	v_lshrrev_b32_e32 v63, 16, v65
	;; [unrolled: 1-line block ×3, first 2 shown]
	v_mul_f16_e64 v134, v81, v65
	v_lshrrev_b32_e32 v127, 16, v69
	v_mul_f16_e64 v135, v81, v66
	v_lshrrev_b32_e32 v129, 16, v70
	;; [unrolled: 2-line block ×3, first 2 shown]
	v_lshrrev_b32_e32 v133, 16, v124
	v_mul_f16_e64 v137, v81, v70
	v_mul_f16_e64 v140, v81, v63
	v_fma_f16 v63, v64, v63, -v134
	v_mul_f16_e64 v134, v81, v125
	v_fma_f16 v125, v64, v125, -v135
	;; [unrolled: 2-line block ×3, first 2 shown]
	v_mul_f16_e64 v136, v81, v129
	v_mul_f16_e64 v138, v81, v123
	;; [unrolled: 1-line block ×3, first 2 shown]
	v_fma_f16 v129, v64, v129, -v137
	v_mul_f16_e64 v137, v81, v131
	v_mul_f16_e64 v81, v81, v133
	v_fmac_f16_e64 v140, v64, v65
	v_lshrrev_b32_e32 v80, 16, v24
	v_fmac_f16_e64 v134, v64, v66
	v_lshrrev_b32_e32 v126, 16, v67
	;; [unrolled: 2-line block ×4, first 2 shown]
	v_lshrrev_b32_e32 v132, 16, v72
	v_fma_f16 v131, v64, v131, -v138
	v_fma_f16 v133, v64, v133, -v139
	v_fmac_f16_e64 v137, v64, v123
	v_fmac_f16_e32 v81, v64, v124
	v_sub_f16_e32 v63, v26, v63
	v_sub_f16_e64 v123, v23, v140
	v_sub_f16_e32 v64, v80, v125
	v_sub_f16_e64 v124, v24, v134
	;; [unrolled: 2-line block ×3, first 2 shown]
	v_sub_f16_e64 v66, v128, v129
	v_sub_f16_e64 v127, v68, v136
	;; [unrolled: 1-line block ×5, first 2 shown]
	v_sub_f16_e32 v81, v72, v81
	v_fma_f16 v26, v26, 2.0, -v63
	v_fma_f16 v23, v23, 2.0, -v123
	;; [unrolled: 1-line block ×12, first 2 shown]
	v_pack_b32_f16 v63, v123, v63
	v_pack_b32_f16 v23, v23, v26
	;; [unrolled: 1-line block ×12, first 2 shown]
	ds_store_2addr_b32 v73, v23, v63 offset1:4
	ds_store_2addr_b32 v75, v24, v64 offset1:4
	;; [unrolled: 1-line block ×6, first 2 shown]
	global_wb scope:SCOPE_SE
	s_wait_dscnt 0x0
	s_barrier_signal -1
	s_barrier_wait -1
	global_inv scope:SCOPE_SE
	ds_load_2addr_b32 v[23:24], v39 offset1:56
	ds_load_2addr_b32 v[63:64], v82 offset0:80 offset1:136
	ds_load_2addr_b32 v[65:66], v39 offset0:112 offset1:168
	;; [unrolled: 1-line block ×5, first 2 shown]
	global_wb scope:SCOPE_SE
	s_wait_dscnt 0x0
	s_barrier_signal -1
	s_barrier_wait -1
	global_inv scope:SCOPE_SE
	v_lshrrev_b32_e32 v26, 16, v23
	v_lshrrev_b32_e32 v73, 16, v63
	v_lshrrev_b32_e32 v76, 16, v64
	v_mul_f16_e32 v126, v96, v63
	v_lshrrev_b32_e32 v78, 16, v67
	v_mul_f16_e32 v127, v96, v64
	v_lshrrev_b32_e32 v80, 16, v68
	v_mul_f16_e64 v128, v96, v67
	v_lshrrev_b32_e32 v123, 16, v71
	v_lshrrev_b32_e32 v125, 16, v72
	v_mul_f16_e64 v129, v96, v68
	v_mul_f16_e64 v132, v96, v73
	v_fma_f16 v73, v74, v73, -v126
	v_mul_f16_e32 v126, v96, v76
	v_fma_f16 v76, v74, v76, -v127
	v_mul_f16_e32 v127, v96, v78
	v_fma_f16 v78, v74, v78, -v128
	v_mul_f16_e64 v128, v96, v80
	v_mul_f16_e64 v130, v96, v71
	v_mul_f16_e64 v131, v96, v72
	v_fma_f16 v80, v74, v80, -v129
	v_mul_f16_e64 v129, v96, v123
	v_mul_f16_e32 v96, v96, v125
	v_fmac_f16_e64 v132, v74, v63
	v_lshrrev_b32_e32 v75, 16, v24
	v_fmac_f16_e32 v126, v74, v64
	v_lshrrev_b32_e32 v77, 16, v65
	v_fmac_f16_e32 v127, v74, v67
	v_lshrrev_b32_e32 v79, 16, v66
	v_fmac_f16_e64 v128, v74, v68
	v_lshrrev_b32_e32 v81, 16, v69
	v_lshrrev_b32_e32 v124, 16, v70
	v_fma_f16 v123, v74, v123, -v130
	v_fma_f16 v125, v74, v125, -v131
	v_fmac_f16_e64 v129, v74, v71
	v_fmac_f16_e32 v96, v74, v72
	v_sub_f16_e32 v63, v26, v73
	v_sub_f16_e64 v73, v23, v132
	v_sub_f16_e32 v64, v75, v76
	v_sub_f16_e32 v74, v24, v126
	;; [unrolled: 1-line block ×5, first 2 shown]
	v_sub_f16_e64 v78, v66, v128
	v_sub_f16_e32 v71, v81, v123
	v_sub_f16_e32 v72, v124, v125
	v_sub_f16_e64 v80, v69, v129
	v_sub_f16_e32 v96, v70, v96
	v_fma_f16 v26, v26, 2.0, -v63
	v_fma_f16 v23, v23, 2.0, -v73
	;; [unrolled: 1-line block ×12, first 2 shown]
	v_pack_b32_f16 v63, v73, v63
	v_pack_b32_f16 v23, v23, v26
	;; [unrolled: 1-line block ×12, first 2 shown]
	ds_store_2addr_b32 v86, v23, v63 offset1:8
	ds_store_2addr_b32 v91, v24, v64 offset1:8
	;; [unrolled: 1-line block ×6, first 2 shown]
	global_wb scope:SCOPE_SE
	s_wait_dscnt 0x0
	s_barrier_signal -1
	s_barrier_wait -1
	global_inv scope:SCOPE_SE
	ds_load_2addr_b32 v[23:24], v39 offset1:56
	ds_load_2addr_b32 v[63:64], v82 offset0:80 offset1:136
	ds_load_2addr_b32 v[65:66], v39 offset0:112 offset1:168
	ds_load_2addr_b32 v[67:68], v82 offset0:192 offset1:248
	ds_load_2addr_b32 v[69:70], v83 offset0:96 offset1:152
	ds_load_2addr_b32 v[71:72], v25 offset0:48 offset1:104
	global_wb scope:SCOPE_SE
	s_wait_dscnt 0x0
	s_barrier_signal -1
	s_barrier_wait -1
	global_inv scope:SCOPE_SE
	v_lshrrev_b32_e32 v26, 16, v23
	v_lshrrev_b32_e32 v73, 16, v63
	;; [unrolled: 1-line block ×3, first 2 shown]
	v_mul_f16_e32 v92, v103, v63
	v_lshrrev_b32_e32 v77, 16, v67
	v_mul_f16_e32 v93, v104, v64
	v_lshrrev_b32_e32 v79, 16, v68
	v_lshrrev_b32_e32 v81, 16, v71
	;; [unrolled: 1-line block ×3, first 2 shown]
	v_mul_f16_e32 v94, v103, v67
	v_mul_f16_e32 v124, v103, v73
	v_fma_f16 v73, v84, v73, -v92
	v_mul_f16_e32 v92, v104, v75
	v_fma_f16 v75, v90, v75, -v93
	v_mul_f16_e32 v93, v103, v77
	v_mul_f16_e32 v95, v87, v68
	;; [unrolled: 1-line block ×5, first 2 shown]
	v_fma_f16 v77, v84, v77, -v94
	v_mul_f16_e32 v94, v103, v81
	v_mul_f16_e32 v89, v89, v91
	v_fmac_f16_e32 v124, v84, v63
	v_lshrrev_b32_e32 v74, 16, v24
	v_fmac_f16_e32 v92, v90, v64
	v_lshrrev_b32_e32 v76, 16, v65
	;; [unrolled: 2-line block ×3, first 2 shown]
	v_fma_f16 v79, v88, v79, -v95
	v_fmac_f16_e32 v87, v88, v68
	v_lshrrev_b32_e32 v80, 16, v69
	v_lshrrev_b32_e32 v86, 16, v70
	v_fma_f16 v81, v84, v81, -v96
	v_fma_f16 v91, v85, v91, -v123
	v_fmac_f16_e32 v94, v84, v71
	v_fmac_f16_e32 v89, v85, v72
	v_sub_f16_e32 v63, v26, v73
	v_sub_f16_e32 v73, v23, v124
	;; [unrolled: 1-line block ×12, first 2 shown]
	v_fma_f16 v26, v26, 2.0, -v63
	v_fma_f16 v23, v23, 2.0, -v73
	;; [unrolled: 1-line block ×12, first 2 shown]
	v_pack_b32_f16 v63, v73, v63
	v_pack_b32_f16 v23, v23, v26
	;; [unrolled: 1-line block ×12, first 2 shown]
	ds_store_2addr_b32 v97, v23, v63 offset1:16
	ds_store_2addr_b32 v98, v24, v64 offset1:16
	;; [unrolled: 1-line block ×6, first 2 shown]
	global_wb scope:SCOPE_SE
	s_wait_dscnt 0x0
	s_barrier_signal -1
	s_barrier_wait -1
	global_inv scope:SCOPE_SE
	ds_load_2addr_b32 v[66:67], v39 offset1:56
	ds_load_2addr_b32 v[68:69], v83 offset0:96 offset1:152
	ds_load_2addr_b32 v[70:71], v82 offset0:192 offset1:248
	;; [unrolled: 1-line block ×5, first 2 shown]
	global_wb scope:SCOPE_SE
	s_wait_dscnt 0x0
	s_barrier_signal -1
	s_barrier_wait -1
	global_inv scope:SCOPE_SE
	v_lshrrev_b32_e32 v74, 16, v66
	v_lshrrev_b32_e32 v65, 16, v68
	;; [unrolled: 1-line block ×3, first 2 shown]
	v_mul_f16_e32 v85, v115, v68
	v_lshrrev_b32_e32 v77, 16, v69
	v_lshrrev_b32_e32 v78, 16, v71
	v_mul_f16_e32 v86, v116, v70
	v_mul_f16_e32 v87, v113, v69
	v_lshrrev_b32_e32 v79, 16, v72
	v_lshrrev_b32_e32 v80, 16, v25
	;; [unrolled: 1-line block ×4, first 2 shown]
	v_mul_f16_e32 v88, v114, v71
	v_mul_f16_e32 v89, v112, v72
	;; [unrolled: 1-line block ×5, first 2 shown]
	v_fma_f16 v65, v15, v65, -v85
	v_mul_f16_e32 v85, v116, v75
	v_mul_f16_e32 v92, v109, v26
	v_fma_f16 v75, v16, v75, -v86
	v_mul_f16_e32 v86, v113, v77
	v_fma_f16 v77, v13, v77, -v87
	;; [unrolled: 2-line block ×6, first 2 shown]
	v_mul_f16_e32 v91, v109, v84
	v_lshrrev_b32_e32 v76, 16, v67
	v_fmac_f16_e32 v93, v15, v68
	v_fmac_f16_e32 v85, v16, v70
	v_fma_f16 v84, v10, v84, -v92
	v_fmac_f16_e32 v86, v13, v69
	v_fmac_f16_e32 v87, v14, v71
	;; [unrolled: 1-line block ×5, first 2 shown]
	v_add_f16_e32 v10, v74, v65
	v_add_f16_e32 v11, v65, v75
	v_lshrrev_b32_e32 v64, 16, v23
	v_fmac_f16_e32 v90, v9, v73
	v_add_f16_e32 v13, v76, v77
	v_add_f16_e32 v25, v79, v80
	v_add_f16_e32 v70, v93, v85
	v_lshrrev_b32_e32 v63, 16, v24
	v_add_f16_e32 v14, v77, v78
	v_add_f16_e32 v68, v81, v84
	;; [unrolled: 1-line block ×3, first 2 shown]
	v_sub_f16_e32 v9, v65, v75
	v_add_f16_e32 v71, v10, v75
	v_fmac_f16_e32 v74, -0.5, v11
	v_sub_f16_e32 v10, v93, v85
	v_add_f16_e32 v75, v88, v89
	v_sub_f16_e32 v12, v77, v78
	v_add_f16_e32 v16, v64, v79
	v_add_f16_e32 v69, v66, v93
	;; [unrolled: 1-line block ×3, first 2 shown]
	v_fmac_f16_e32 v64, -0.5, v25
	v_sub_f16_e32 v25, v88, v89
	v_add_f16_e32 v78, v90, v91
	v_fma_f16 v70, -0.5, v70, v66
	v_add_f16_e32 v65, v63, v81
	v_add_f16_e32 v11, v67, v86
	v_fmac_f16_e32 v76, -0.5, v14
	v_sub_f16_e32 v14, v86, v87
	v_fmac_f16_e32 v63, -0.5, v68
	v_sub_f16_e32 v68, v90, v91
	v_fmac_f16_e32 v67, -0.5, v72
	v_sub_f16_e32 v15, v79, v80
	v_add_f16_e32 v73, v23, v88
	v_add_f16_e32 v77, v24, v90
	v_fmamk_f16 v79, v10, 0x3aee, v74
	v_fmac_f16_e32 v74, 0xbaee, v10
	v_fma_f16 v10, -0.5, v75, v23
	v_sub_f16_e32 v26, v81, v84
	v_add_f16_e32 v69, v69, v85
	v_fmamk_f16 v23, v25, 0x3aee, v64
	v_fmac_f16_e32 v64, 0xbaee, v25
	v_fmac_f16_e32 v24, -0.5, v78
	v_fmamk_f16 v25, v9, 0xbaee, v70
	v_fmac_f16_e32 v70, 0x3aee, v9
	v_add_f16_e32 v16, v16, v80
	v_add_f16_e32 v80, v11, v87
	v_fmamk_f16 v72, v14, 0x3aee, v76
	v_fmamk_f16 v66, v68, 0x3aee, v63
	v_fmac_f16_e32 v63, 0xbaee, v68
	v_fmamk_f16 v68, v12, 0xbaee, v67
	v_fmac_f16_e32 v76, 0xbaee, v14
	v_fmac_f16_e32 v67, 0x3aee, v12
	v_add_f16_e32 v65, v65, v84
	v_add_f16_e32 v14, v73, v89
	;; [unrolled: 1-line block ×3, first 2 shown]
	v_fmamk_f16 v9, v15, 0xbaee, v10
	v_fmac_f16_e32 v10, 0x3aee, v15
	v_fmamk_f16 v12, v26, 0xbaee, v24
	v_fmac_f16_e32 v24, 0x3aee, v26
	v_pack_b32_f16 v15, v69, v71
	v_pack_b32_f16 v25, v25, v79
	;; [unrolled: 1-line block ×12, first 2 shown]
	ds_store_2addr_b32 v108, v15, v25 offset1:32
	ds_store_b32 v108, v26 offset:256
	ds_store_2addr_b32 v107, v13, v68 offset1:32
	ds_store_b32 v107, v67 offset:256
	;; [unrolled: 2-line block ×4, first 2 shown]
	global_wb scope:SCOPE_SE
	s_wait_dscnt 0x0
	s_barrier_signal -1
	s_barrier_wait -1
	global_inv scope:SCOPE_SE
	ds_load_2addr_b32 v[13:14], v39 offset1:96
	ds_load_2addr_b32 v[25:26], v83 offset0:64 offset1:160
	ds_load_2addr_b32 v[15:16], v82 offset0:128 offset1:224
	ds_load_b32 v67, v39 offset:2304
	s_and_saveexec_b32 s0, vcc_lo
	s_cbranch_execz .LBB0_7
; %bb.6:
	ds_load_2addr_b32 v[9:10], v39 offset0:56 offset1:152
	ds_load_2addr_b32 v[11:12], v83 offset0:120 offset1:216
	;; [unrolled: 1-line block ×3, first 2 shown]
	ds_load_b32 v29, v39 offset:2528
	s_wait_dscnt 0x3
	v_lshrrev_b32_e32 v23, 16, v9
	v_lshrrev_b32_e32 v64, 16, v10
	s_wait_dscnt 0x2
	v_lshrrev_b32_e32 v65, 16, v11
	v_lshrrev_b32_e32 v66, 16, v12
	s_wait_dscnt 0x1
	v_lshrrev_b32_e32 v63, 16, v21
	v_lshrrev_b32_e32 v28, 16, v22
	s_wait_dscnt 0x0
	v_lshrrev_b32_e32 v31, 16, v29
	v_mov_b32_e32 v24, v21
.LBB0_7:
	s_wait_alu 0xfffe
	s_or_b32 exec_lo, exec_lo, s0
	s_wait_dscnt 0x3
	v_lshrrev_b32_e32 v21, 16, v14
	s_wait_dscnt 0x2
	v_lshrrev_b32_e32 v69, 16, v25
	v_lshrrev_b32_e32 v70, 16, v26
	v_mul_f16_e32 v71, v122, v14
	s_wait_dscnt 0x1
	v_lshrrev_b32_e32 v73, 16, v15
	v_mul_f16_e32 v72, v122, v21
	v_lshrrev_b32_e32 v74, 16, v16
	s_wait_dscnt 0x0
	v_lshrrev_b32_e32 v75, 16, v67
	v_fma_f16 v21, v4, v21, -v71
	v_mul_f16_e32 v71, v120, v70
	v_fmac_f16_e32 v72, v4, v14
	v_mul_f16_e32 v4, v121, v69
	v_mul_f16_e32 v14, v121, v25
	;; [unrolled: 1-line block ×4, first 2 shown]
	v_fmac_f16_e32 v71, v6, v26
	v_fmac_f16_e32 v4, v5, v25
	v_fma_f16 v5, v5, v69, -v14
	v_fmac_f16_e32 v77, v7, v15
	v_mul_f16_e32 v14, v119, v75
	v_mul_f16_e32 v25, v119, v67
	;; [unrolled: 1-line block ×5, first 2 shown]
	v_fmac_f16_e32 v14, v20, v67
	v_fma_f16 v20, v20, v75, -v25
	v_fma_f16 v7, v7, v73, -v15
	v_fmac_f16_e32 v26, v19, v16
	v_fma_f16 v15, v19, v74, -v69
	v_fma_f16 v6, v6, v70, -v76
	v_add_f16_e32 v16, v72, v14
	v_add_f16_e32 v19, v21, v20
	v_sub_f16_e32 v20, v21, v20
	v_add_f16_e32 v21, v4, v26
	v_add_f16_e32 v25, v5, v15
	v_sub_f16_e32 v4, v4, v26
	v_sub_f16_e32 v5, v5, v15
	v_add_f16_e32 v15, v71, v77
	v_add_f16_e32 v26, v6, v7
	v_sub_f16_e32 v67, v77, v71
	;; [unrolled: 4-line block ×3, first 2 shown]
	v_lshrrev_b32_e32 v68, 16, v13
	v_sub_f16_e32 v70, v21, v16
	v_sub_f16_e32 v71, v25, v19
	v_sub_f16_e32 v16, v16, v15
	v_sub_f16_e32 v19, v19, v26
	v_sub_f16_e32 v21, v15, v21
	v_sub_f16_e32 v25, v26, v25
	v_add_f16_e32 v72, v67, v4
	v_add_f16_e32 v73, v6, v5
	v_sub_f16_e32 v74, v67, v4
	v_sub_f16_e32 v75, v6, v5
	v_add_f16_e32 v7, v15, v7
	v_add_f16_e32 v15, v26, v69
	v_sub_f16_e32 v4, v4, v14
	v_sub_f16_e32 v5, v5, v20
	;; [unrolled: 1-line block ×4, first 2 shown]
	v_add_f16_e32 v14, v72, v14
	v_add_f16_e32 v20, v73, v20
	;; [unrolled: 1-line block ×4, first 2 shown]
	v_mul_f16_e32 v16, 0x3a52, v16
	v_mul_f16_e32 v19, 0x3a52, v19
	;; [unrolled: 1-line block ×8, first 2 shown]
	v_fmamk_f16 v7, v7, 0xbcab, v13
	v_fmamk_f16 v15, v15, 0xbcab, v26
	;; [unrolled: 1-line block ×4, first 2 shown]
	v_fma_f16 v68, v70, 0x39e0, -v68
	v_fma_f16 v69, v71, 0x39e0, -v69
	;; [unrolled: 1-line block ×4, first 2 shown]
	v_fmamk_f16 v70, v67, 0xb574, v72
	v_fmamk_f16 v71, v6, 0xb574, v73
	v_fma_f16 v4, v4, 0xbb00, -v72
	v_fma_f16 v5, v5, 0xbb00, -v73
	;; [unrolled: 1-line block ×4, first 2 shown]
	v_add_f16_e32 v21, v21, v7
	v_add_f16_e32 v25, v25, v15
	v_fmac_f16_e32 v70, 0xb70e, v14
	v_fmac_f16_e32 v71, 0xb70e, v20
	v_add_f16_e32 v68, v68, v7
	v_add_f16_e32 v69, v69, v15
	v_add_f16_e32 v7, v16, v7
	v_add_f16_e32 v15, v19, v15
	v_fmac_f16_e32 v4, 0xb70e, v14
	v_fmac_f16_e32 v6, 0xb70e, v20
	;; [unrolled: 1-line block ×4, first 2 shown]
	v_add_f16_e32 v14, v71, v21
	v_sub_f16_e32 v16, v25, v70
	v_add_f16_e32 v19, v6, v7
	v_sub_f16_e32 v20, v15, v67
	v_sub_f16_e32 v72, v68, v5
	v_add_f16_e32 v73, v4, v69
	v_add_f16_e32 v5, v5, v68
	v_sub_f16_e32 v4, v69, v4
	v_sub_f16_e32 v6, v7, v6
	v_add_f16_e32 v7, v67, v15
	v_sub_f16_e32 v15, v21, v71
	v_add_f16_e32 v21, v70, v25
	v_pack_b32_f16 v13, v13, v26
	v_pack_b32_f16 v14, v14, v16
	;; [unrolled: 1-line block ×7, first 2 shown]
	ds_store_2addr_b32 v39, v13, v14 offset1:96
	ds_store_2addr_b32 v83, v16, v19 offset0:64 offset1:160
	ds_store_2addr_b32 v82, v4, v5 offset0:128 offset1:224
	ds_store_b32 v39, v6 offset:2304
	s_and_saveexec_b32 s0, vcc_lo
	s_cbranch_execz .LBB0_9
; %bb.8:
	v_mul_f16_e32 v6, v34, v64
	v_mul_f16_e32 v7, v35, v31
	;; [unrolled: 1-line block ×5, first 2 shown]
	v_fmac_f16_e32 v6, v0, v10
	v_fmac_f16_e32 v7, v18, v29
	;; [unrolled: 1-line block ×3, first 2 shown]
	v_mul_f16_e32 v10, v34, v10
	v_fma_f16 v14, v18, v31, -v14
	v_mul_f16_e32 v18, v33, v22
	v_mul_f16_e32 v11, v32, v11
	;; [unrolled: 1-line block ×3, first 2 shown]
	v_fmac_f16_e32 v5, v2, v12
	v_mul_f16_e32 v16, v33, v28
	v_fma_f16 v0, v0, v64, -v10
	v_mul_f16_e32 v10, v27, v12
	v_mul_f16_e32 v12, v30, v24
	v_fma_f16 v18, v17, v28, -v18
	v_fma_f16 v1, v1, v65, -v11
	v_fmac_f16_e32 v4, v3, v24
	v_fmac_f16_e32 v16, v17, v22
	v_fma_f16 v2, v2, v66, -v10
	v_fma_f16 v3, v3, v63, -v12
	v_add_f16_e32 v10, v14, v0
	v_add_f16_e32 v11, v18, v1
	v_sub_f16_e32 v19, v6, v7
	v_add_f16_e32 v6, v7, v6
	v_add_f16_e32 v17, v3, v2
	;; [unrolled: 1-line block ×4, first 2 shown]
	v_sub_f16_e32 v15, v4, v5
	v_add_f16_e32 v4, v4, v5
	v_sub_f16_e32 v2, v3, v2
	v_sub_f16_e32 v1, v1, v18
	;; [unrolled: 1-line block ×5, first 2 shown]
	v_add_f16_e32 v20, v17, v20
	v_add_f16_e32 v16, v7, v6
	v_sub_f16_e32 v3, v6, v4
	v_sub_f16_e32 v14, v2, v1
	;; [unrolled: 1-line block ×3, first 2 shown]
	v_add_f16_e32 v2, v2, v1
	v_sub_f16_e32 v21, v15, v12
	v_mul_f16_e32 v22, 0x3a52, v22
	v_sub_f16_e32 v17, v17, v11
	v_add_f16_e32 v23, v23, v20
	v_add_f16_e32 v16, v4, v16
	v_sub_f16_e32 v24, v19, v15
	v_add_f16_e32 v15, v15, v12
	v_mul_f16_e32 v3, 0x3a52, v3
	v_sub_f16_e32 v4, v4, v7
	v_sub_f16_e32 v12, v12, v19
	v_add_f16_e32 v2, v2, v0
	v_sub_f16_e32 v0, v1, v0
	v_mul_f16_e32 v21, 0x3846, v21
	v_fmamk_f16 v26, v17, 0x2b26, v22
	v_fmamk_f16 v20, v20, 0xbcab, v23
	v_mul_f16_e32 v13, 0x2b26, v17
	v_add_f16_e32 v9, v9, v16
	v_mul_f16_e32 v14, 0x3846, v14
	v_sub_f16_e32 v10, v11, v10
	v_add_f16_e32 v15, v15, v19
	v_fmamk_f16 v19, v4, 0x2b26, v3
	v_mul_f16_e32 v27, 0xbb00, v12
	v_mul_f16_e32 v4, 0x2b26, v4
	v_sub_f16_e32 v6, v7, v6
	v_mul_f16_e32 v7, 0xbb00, v0
	v_fmamk_f16 v25, v24, 0xb574, v21
	v_add_f16_e32 v5, v26, v20
	v_fmamk_f16 v16, v16, 0xbcab, v9
	v_fmamk_f16 v26, v18, 0xb574, v14
	v_fma_f16 v22, v10, 0xb9e0, -v22
	v_fma_f16 v10, v10, 0x39e0, -v13
	;; [unrolled: 1-line block ×8, first 2 shown]
	v_fmac_f16_e32 v25, 0xb70e, v15
	v_add_f16_e32 v19, v19, v16
	v_fmac_f16_e32 v26, 0xb70e, v2
	v_add_f16_e32 v10, v10, v20
	v_fmac_f16_e32 v12, 0xb70e, v15
	v_fmac_f16_e32 v1, 0xb70e, v15
	v_add_f16_e32 v13, v22, v20
	v_add_f16_e32 v3, v3, v16
	v_fmac_f16_e32 v7, 0xb70e, v2
	v_fmac_f16_e32 v0, 0xb70e, v2
	v_add_f16_e32 v2, v4, v16
	v_add_f16_e32 v17, v25, v5
	v_sub_f16_e32 v15, v10, v12
	v_add_f16_e32 v4, v12, v10
	v_sub_f16_e32 v5, v5, v25
	v_add_f16_e32 v10, v26, v19
	v_add_f16_e32 v6, v1, v13
	v_sub_f16_e32 v14, v3, v7
	v_sub_f16_e32 v1, v13, v1
	v_add_f16_e32 v3, v7, v3
	v_sub_f16_e32 v7, v2, v0
	v_add_f16_e32 v0, v0, v2
	v_sub_f16_e32 v11, v19, v26
	v_pack_b32_f16 v2, v9, v23
	v_pack_b32_f16 v5, v10, v5
	;; [unrolled: 1-line block ×4, first 2 shown]
	v_add_nc_u32_e32 v4, 0x200, v39
	v_pack_b32_f16 v0, v0, v15
	v_pack_b32_f16 v6, v14, v6
	v_add_nc_u32_e32 v7, 0x600, v39
	v_pack_b32_f16 v9, v11, v17
	ds_store_2addr_b32 v39, v2, v5 offset0:56 offset1:152
	ds_store_2addr_b32 v4, v1, v3 offset0:120 offset1:216
	ds_store_2addr_b32 v7, v0, v6 offset0:56 offset1:152
	ds_store_b32 v39, v9 offset:2528
.LBB0_9:
	s_wait_alu 0xfffe
	s_or_b32 exec_lo, exec_lo, s0
	global_wb scope:SCOPE_SE
	s_wait_dscnt 0x0
	s_barrier_signal -1
	s_barrier_wait -1
	global_inv scope:SCOPE_SE
	ds_load_2addr_b32 v[0:1], v39 offset1:56
	v_add_nc_u32_e32 v2, 0x400, v39
	s_mov_b32 s8, 0x18618618
	s_mov_b32 s9, 0x3f586186
	v_mad_co_u64_u32 v[17:18], null, s4, v55, 0
	ds_load_2addr_b32 v[3:4], v2 offset0:80 offset1:136
	s_wait_dscnt 0x1
	v_lshrrev_b32_e32 v5, 16, v0
	v_mul_f16_e32 v6, v62, v0
	v_lshrrev_b32_e32 v15, 16, v1
	s_delay_alu instid0(VALU_DEP_3) | instskip(NEXT) | instid1(VALU_DEP_3)
	v_mul_f16_e32 v7, v62, v5
	v_fma_f16 v5, v59, v5, -v6
	s_wait_dscnt 0x0
	v_lshrrev_b32_e32 v11, 16, v3
	v_mul_f16_e32 v9, v61, v3
	v_mul_f16_e32 v12, v60, v15
	v_fmac_f16_e32 v7, v59, v0
	v_cvt_f32_f16_e32 v0, v5
	s_delay_alu instid0(VALU_DEP_3) | instskip(NEXT) | instid1(VALU_DEP_3)
	v_fmac_f16_e32 v12, v57, v1
	v_cvt_f32_f16_e32 v7, v7
	s_delay_alu instid0(VALU_DEP_3) | instskip(SKIP_1) | instid1(VALU_DEP_4)
	v_cvt_f64_f32_e32 v[5:6], v0
	v_fma_f16 v0, v58, v11, -v9
	v_cvt_f32_f16_e32 v13, v12
	s_delay_alu instid0(VALU_DEP_4) | instskip(SKIP_1) | instid1(VALU_DEP_4)
	v_cvt_f64_f32_e32 v[9:10], v7
	v_mul_f16_e32 v7, v61, v11
	v_cvt_f32_f16_e32 v0, v0
	s_delay_alu instid0(VALU_DEP_4) | instskip(NEXT) | instid1(VALU_DEP_3)
	v_cvt_f64_f32_e32 v[13:14], v13
	v_fmac_f16_e32 v7, v58, v3
	s_delay_alu instid0(VALU_DEP_3) | instskip(SKIP_1) | instid1(VALU_DEP_3)
	v_cvt_f64_f32_e32 v[11:12], v0
	v_mul_f16_e32 v3, v60, v1
	v_cvt_f32_f16_e32 v0, v7
	s_delay_alu instid0(VALU_DEP_2) | instskip(SKIP_1) | instid1(VALU_DEP_3)
	v_fma_f16 v3, v57, v15, -v3
	v_mad_co_u64_u32 v[15:16], null, s6, v8, 0
	v_cvt_f64_f32_e32 v[0:1], v0
	s_delay_alu instid0(VALU_DEP_3) | instskip(NEXT) | instid1(VALU_DEP_1)
	v_cvt_f32_f16_e32 v3, v3
	v_cvt_f64_f32_e32 v[19:20], v3
	s_delay_alu instid0(VALU_DEP_4) | instskip(NEXT) | instid1(VALU_DEP_1)
	v_mov_b32_e32 v3, v16
	v_mad_co_u64_u32 v[21:22], null, s7, v8, v[3:4]
	v_mov_b32_e32 v7, v18
	v_lshrrev_b32_e32 v3, 16, v4
	s_movk_i32 s6, 0xfba0
	s_wait_alu 0xfffe
	v_mul_f64_e32 v[5:6], s[8:9], v[5:6]
	s_mov_b32 s7, -1
	s_delay_alu instid0(VALU_DEP_4)
	v_mov_b32_e32 v16, v21
	v_mul_f64_e32 v[9:10], s[8:9], v[9:10]
	v_mad_co_u64_u32 v[7:8], null, s5, v55, v[7:8]
	v_mul_f16_e32 v21, v56, v3
	v_mul_f64_e32 v[13:14], s[8:9], v[13:14]
	s_wait_alu 0xfffe
	s_mul_u64 s[6:7], s[4:5], s[6:7]
	v_mul_f64_e32 v[11:12], s[8:9], v[11:12]
	v_fmac_f16_e32 v21, v53, v4
	v_mul_f16_e32 v4, v56, v4
	s_delay_alu instid0(VALU_DEP_2) | instskip(NEXT) | instid1(VALU_DEP_2)
	v_cvt_f32_f16_e32 v21, v21
	v_fma_f16 v3, v53, v3, -v4
	s_delay_alu instid0(VALU_DEP_1)
	v_cvt_f32_f16_e32 v3, v3
	v_mul_f64_e32 v[19:20], s[8:9], v[19:20]
	v_and_or_b32 v5, 0x1ff, v6, v5
	v_bfe_u32 v22, v6, 20, 11
	v_and_or_b32 v9, 0x1ff, v10, v9
	v_bfe_u32 v24, v10, 20, 11
	v_lshrrev_b32_e32 v23, 8, v10
	s_delay_alu instid0(VALU_DEP_4)
	v_sub_nc_u32_e32 v25, 0x3f1, v22
	v_add_nc_u32_e32 v22, 0xfffffc10, v22
	v_and_or_b32 v13, 0x1ff, v14, v13
	v_sub_nc_u32_e32 v29, 0x3f1, v24
	v_bfe_u32 v27, v12, 20, 11
	v_mov_b32_e32 v18, v7
	v_lshlrev_b64_e32 v[7:8], 2, v[15:16]
	v_mul_f64_e32 v[15:16], s[8:9], v[0:1]
	v_and_or_b32 v11, 0x1ff, v12, v11
	v_sub_nc_u32_e32 v31, 0x3f1, v27
	v_add_nc_u32_e32 v27, 0xfffffc10, v27
	v_lshlrev_b64_e32 v[17:18], 2, v[17:18]
	v_add_co_u32 v0, vcc_lo, s2, v7
	s_wait_alu 0xfffd
	v_add_co_ci_u32_e32 v1, vcc_lo, s3, v8, vcc_lo
	v_lshrrev_b32_e32 v26, 8, v12
	s_delay_alu instid0(VALU_DEP_3) | instskip(SKIP_1) | instid1(VALU_DEP_3)
	v_add_co_u32 v7, vcc_lo, v0, v17
	s_wait_alu 0xfffd
	v_add_co_ci_u32_e32 v8, vcc_lo, v1, v18, vcc_lo
	v_cmp_ne_u32_e32 vcc_lo, 0, v5
	v_cvt_f64_f32_e32 v[17:18], v21
	v_lshrrev_b32_e32 v21, 8, v6
	v_add_nc_u32_e32 v24, 0xfffffc10, v24
	v_lshrrev_b32_e32 v6, 16, v6
	s_wait_alu 0xfffd
	v_cndmask_b32_e64 v5, 0, 1, vcc_lo
	v_cmp_ne_u32_e32 vcc_lo, 0, v9
	v_lshrrev_b32_e32 v10, 16, v10
	v_lshrrev_b32_e32 v28, 8, v14
	v_and_or_b32 v19, 0x1ff, v20, v19
	v_and_or_b32 v5, 0xffe, v21, v5
	s_wait_alu 0xfffd
	v_cndmask_b32_e64 v9, 0, 1, vcc_lo
	v_cmp_ne_u32_e32 vcc_lo, 0, v11
	v_med3_i32 v21, v25, 0, 13
	v_lshrrev_b32_e32 v12, 16, v12
	v_lshl_or_b32 v32, v22, 12, v5
	v_and_or_b32 v9, 0xffe, v23, v9
	s_wait_alu 0xfffd
	v_cndmask_b32_e64 v11, 0, 1, vcc_lo
	v_cmp_ne_u32_e32 vcc_lo, 0, v5
	v_med3_i32 v23, v29, 0, 13
	v_or_b32_e32 v29, 0x1000, v5
	v_lshl_or_b32 v34, v24, 12, v9
	v_and_or_b32 v11, 0xffe, v26, v11
	s_wait_alu 0xfffd
	v_cndmask_b32_e64 v5, 0, 1, vcc_lo
	v_and_or_b32 v15, 0x1ff, v16, v15
	v_lshrrev_b32_e32 v25, 8, v16
	v_bfe_u32 v30, v16, 20, 11
	v_med3_i32 v26, v31, 0, 13
	v_or_b32_e32 v31, 0x1000, v9
	v_cmp_ne_u32_e32 vcc_lo, 0, v15
	v_lshrrev_b32_e32 v35, v21, v29
	v_sub_nc_u32_e32 v33, 0x3f1, v30
	v_add_nc_u32_e32 v30, 0xfffffc10, v30
	v_lshl_or_b32 v55, v27, 12, v11
	s_wait_alu 0xfffd
	v_cndmask_b32_e64 v15, 0, 1, vcc_lo
	v_cmp_ne_u32_e32 vcc_lo, 0, v9
	v_lshrrev_b32_e32 v57, v23, v31
	v_lshlrev_b32_e32 v21, v21, v35
	v_cmp_gt_i32_e64 s3, 1, v30
	v_and_or_b32 v15, 0xffe, v25, v15
	s_wait_alu 0xfffd
	v_cndmask_b32_e64 v9, 0, 1, vcc_lo
	v_med3_i32 v25, v33, 0, 13
	v_or_b32_e32 v33, 0x1000, v11
	v_lshl_or_b32 v5, v5, 9, 0x7c00
	v_cmp_ne_u32_e32 vcc_lo, 0, v15
	v_or_b32_e32 v58, 0x1000, v15
	v_lshl_or_b32 v59, v30, 12, v15
	v_lshrrev_b32_e32 v60, v26, v33
	v_lshl_or_b32 v9, v9, 9, 0x7c00
	s_wait_alu 0xfffd
	v_cndmask_b32_e64 v15, 0, 1, vcc_lo
	v_cmp_ne_u32_e32 vcc_lo, v21, v29
	v_lshrrev_b32_e32 v29, v25, v58
	v_lshlrev_b32_e32 v26, v26, v60
	v_lshrrev_b32_e32 v16, 16, v16
	v_lshl_or_b32 v15, v15, 9, 0x7c00
	v_lshlrev_b32_e32 v23, v23, v57
	s_wait_alu 0xfffd
	v_cndmask_b32_e64 v21, 0, 1, vcc_lo
	v_lshlrev_b32_e32 v25, v25, v29
	s_delay_alu instid0(VALU_DEP_3) | instskip(NEXT) | instid1(VALU_DEP_3)
	v_cmp_ne_u32_e32 vcc_lo, v23, v31
	v_or_b32_e32 v21, v35, v21
	s_wait_alu 0xfffd
	v_cndmask_b32_e64 v23, 0, 1, vcc_lo
	v_cmp_ne_u32_e32 vcc_lo, v26, v33
	s_delay_alu instid0(VALU_DEP_2) | instskip(SKIP_3) | instid1(VALU_DEP_2)
	v_or_b32_e32 v23, v57, v23
	s_wait_alu 0xfffd
	v_cndmask_b32_e64 v26, 0, 1, vcc_lo
	v_cmp_gt_i32_e32 vcc_lo, 1, v22
	v_or_b32_e32 v26, v60, v26
	s_wait_alu 0xfffd
	v_cndmask_b32_e32 v21, v32, v21, vcc_lo
	v_cmp_gt_i32_e32 vcc_lo, 1, v24
	s_delay_alu instid0(VALU_DEP_2)
	v_and_b32_e32 v31, 7, v21
	s_wait_alu 0xfffd
	v_cndmask_b32_e32 v23, v34, v23, vcc_lo
	v_cmp_ne_u32_e32 vcc_lo, v25, v58
	v_lshrrev_b32_e32 v21, 2, v21
	v_cmp_lt_i32_e64 s1, 5, v31
	s_delay_alu instid0(VALU_DEP_4)
	v_and_b32_e32 v32, 7, v23
	s_wait_alu 0xfffd
	v_cndmask_b32_e64 v25, 0, 1, vcc_lo
	v_cmp_gt_i32_e32 vcc_lo, 1, v27
	v_lshrrev_b32_e32 v23, 2, v23
	v_cmp_eq_u32_e64 s2, 3, v31
	v_cmp_eq_u32_e64 s0, 3, v32
	v_or_b32_e32 v25, v29, v25
	s_wait_alu 0xfffd
	v_cndmask_b32_e32 v26, v55, v26, vcc_lo
	v_cmp_lt_i32_e32 vcc_lo, 5, v32
	s_wait_alu 0xf1ff
	v_cndmask_b32_e64 v25, v59, v25, s3
	s_or_b32 vcc_lo, s0, vcc_lo
	s_wait_alu 0xfffe
	v_add_co_ci_u32_e32 v23, vcc_lo, 0, v23, vcc_lo
	s_or_b32 vcc_lo, s2, s1
	v_and_b32_e32 v29, 7, v25
	s_wait_alu 0xfffe
	v_add_co_ci_u32_e32 v21, vcc_lo, 0, v21, vcc_lo
	v_cmp_gt_i32_e32 vcc_lo, 31, v24
	v_cmp_eq_u32_e64 s1, 0x40f, v24
	v_cmp_eq_u32_e64 s0, 3, v29
	v_lshrrev_b32_e32 v25, 2, v25
	s_mul_u64 s[2:3], s[4:5], 0x540
	s_wait_alu 0xfffd
	v_cndmask_b32_e32 v23, 0x7c00, v23, vcc_lo
	v_cmp_gt_i32_e32 vcc_lo, 31, v22
	s_delay_alu instid0(VALU_DEP_2)
	v_cndmask_b32_e64 v9, v23, v9, s1
	s_wait_alu 0xfffd
	v_cndmask_b32_e32 v21, 0x7c00, v21, vcc_lo
	v_cmp_lt_i32_e32 vcc_lo, 5, v29
	v_cmp_eq_u32_e64 s1, 0x40f, v22
	v_and_or_b32 v9, 0x8000, v10, v9
	v_and_b32_e32 v10, 7, v26
	s_or_b32 vcc_lo, s0, vcc_lo
	s_delay_alu instid0(VALU_DEP_3)
	v_cndmask_b32_e64 v5, v21, v5, s1
	s_wait_alu 0xfffe
	v_add_co_ci_u32_e32 v21, vcc_lo, 0, v25, vcc_lo
	v_cmp_gt_i32_e32 vcc_lo, 31, v30
	v_and_b32_e32 v9, 0xffff, v9
	v_and_or_b32 v5, 0x8000, v6, v5
	v_cmp_eq_u32_e64 s0, 3, v10
	s_wait_alu 0xfffd
	v_cndmask_b32_e32 v6, 0x7c00, v21, vcc_lo
	v_cmp_ne_u32_e32 vcc_lo, 0, v13
	v_lshl_or_b32 v9, v5, 16, v9
	v_bfe_u32 v5, v14, 20, 11
	s_wait_alu 0xfffd
	v_cndmask_b32_e64 v13, 0, 1, vcc_lo
	v_cmp_eq_u32_e32 vcc_lo, 0x40f, v30
	s_delay_alu instid0(VALU_DEP_3)
	v_add_nc_u32_e32 v22, 0xfffffc10, v5
	global_store_b32 v[7:8], v9, off
	v_and_or_b32 v13, 0xffe, v28, v13
	s_wait_alu 0xfffd
	v_cndmask_b32_e32 v6, v6, v15, vcc_lo
	v_cmp_lt_i32_e32 vcc_lo, 5, v10
	v_sub_nc_u32_e32 v15, 0x3f1, v5
	s_delay_alu instid0(VALU_DEP_3)
	v_and_or_b32 v10, 0x8000, v16, v6
	v_lshrrev_b32_e32 v6, 2, v26
	s_or_b32 vcc_lo, s0, vcc_lo
	v_or_b32_e32 v16, 0x1000, v13
	v_med3_i32 v15, v15, 0, 13
	v_and_b32_e32 v10, 0xffff, v10
	s_wait_alu 0xfffe
	v_add_co_ci_u32_e32 v6, vcc_lo, 0, v6, vcc_lo
	v_cmp_ne_u32_e32 vcc_lo, 0, v11
	v_lshrrev_b32_e32 v21, v15, v16
	s_wait_alu 0xfffd
	v_cndmask_b32_e64 v11, 0, 1, vcc_lo
	v_cmp_gt_i32_e32 vcc_lo, 31, v27
	s_delay_alu instid0(VALU_DEP_3) | instskip(SKIP_1) | instid1(VALU_DEP_4)
	v_lshlrev_b32_e32 v4, v15, v21
	v_lshrrev_b32_e32 v15, 8, v20
	v_lshl_or_b32 v11, v11, 9, 0x7c00
	s_wait_alu 0xfffd
	v_cndmask_b32_e32 v6, 0x7c00, v6, vcc_lo
	v_cmp_eq_u32_e32 vcc_lo, 0x40f, v27
	s_wait_alu 0xfffd
	s_delay_alu instid0(VALU_DEP_2) | instskip(SKIP_3) | instid1(VALU_DEP_4)
	v_cndmask_b32_e32 v11, v6, v11, vcc_lo
	v_cmp_ne_u32_e32 vcc_lo, 0, v19
	v_bfe_u32 v19, v20, 20, 11
	v_lshrrev_b32_e32 v20, 16, v20
	v_and_or_b32 v11, 0x8000, v12, v11
	s_wait_alu 0xfffd
	v_cndmask_b32_e64 v6, 0, 1, vcc_lo
	v_cmp_ne_u32_e32 vcc_lo, v4, v16
	v_cvt_f64_f32_e32 v[3:4], v3
	v_lshl_or_b32 v23, v11, 16, v10
	s_delay_alu instid0(VALU_DEP_4)
	v_and_or_b32 v15, 0xffe, v15, v6
	s_wait_alu 0xfffd
	v_cndmask_b32_e64 v16, 0, 1, vcc_lo
	v_mul_f64_e32 v[5:6], s[8:9], v[17:18]
	v_lshl_or_b32 v18, v22, 12, v13
	v_cmp_gt_i32_e32 vcc_lo, 1, v22
	v_sub_nc_u32_e32 v17, 0x3f1, v19
	v_or_b32_e32 v16, v21, v16
	v_or_b32_e32 v21, 0x1000, v15
	s_delay_alu instid0(VALU_DEP_3) | instskip(SKIP_1) | instid1(VALU_DEP_3)
	v_med3_i32 v17, v17, 0, 13
	s_wait_alu 0xfffd
	v_cndmask_b32_e32 v16, v18, v16, vcc_lo
	s_delay_alu instid0(VALU_DEP_2) | instskip(NEXT) | instid1(VALU_DEP_2)
	v_lshrrev_b32_e32 v12, v17, v21
	v_and_b32_e32 v18, 7, v16
	v_lshrrev_b32_e32 v11, 2, v16
	s_delay_alu instid0(VALU_DEP_3) | instskip(NEXT) | instid1(VALU_DEP_3)
	v_lshlrev_b32_e32 v9, v17, v12
	v_cmp_lt_i32_e32 vcc_lo, 5, v18
	v_cmp_eq_u32_e64 s0, 3, v18
	v_add_nc_u32_e32 v17, 0xfffffc10, v19
	s_delay_alu instid0(VALU_DEP_4)
	v_cmp_ne_u32_e64 s1, v9, v21
	ds_load_2addr_b32 v[9:10], v39 offset0:112 offset1:168
	s_or_b32 vcc_lo, s0, vcc_lo
	s_wait_alu 0xfffe
	v_add_co_ci_u32_e32 v11, vcc_lo, 0, v11, vcc_lo
	v_cmp_ne_u32_e32 vcc_lo, 0, v13
	v_cndmask_b32_e64 v16, 0, 1, s1
	v_mul_f64_e32 v[3:4], s[8:9], v[3:4]
	s_wait_alu 0xfffd
	v_cndmask_b32_e64 v13, 0, 1, vcc_lo
	v_cmp_gt_i32_e32 vcc_lo, 31, v22
	v_or_b32_e32 v12, v12, v16
	v_lshl_or_b32 v16, v17, 12, v15
	v_and_or_b32 v5, 0x1ff, v6, v5
	v_lshl_or_b32 v13, v13, 9, 0x7c00
	s_wait_alu 0xfffd
	v_cndmask_b32_e32 v11, 0x7c00, v11, vcc_lo
	v_cmp_gt_i32_e32 vcc_lo, 1, v17
	v_lshrrev_b32_e32 v18, 8, v6
	v_bfe_u32 v19, v6, 20, 11
	s_wait_alu 0xfffd
	v_cndmask_b32_e32 v12, v16, v12, vcc_lo
	v_cmp_eq_u32_e32 vcc_lo, 0x40f, v22
	s_wait_dscnt 0x0
	v_lshrrev_b32_e32 v16, 16, v9
	s_wait_alu 0xfffd
	v_cndmask_b32_e32 v11, v11, v13, vcc_lo
	v_cmp_ne_u32_e32 vcc_lo, 0, v5
	v_lshrrev_b32_e32 v13, 16, v14
	v_and_b32_e32 v14, 7, v12
	v_mul_f16_e32 v21, v54, v16
	v_lshrrev_b32_e32 v12, 2, v12
	s_wait_alu 0xfffd
	v_cndmask_b32_e64 v5, 0, 1, vcc_lo
	v_and_or_b32 v22, 0x8000, v13, v11
	v_sub_nc_u32_e32 v11, 0x3f1, v19
	v_cmp_lt_i32_e32 vcc_lo, 5, v14
	v_cmp_eq_u32_e64 s0, 3, v14
	v_and_or_b32 v5, 0xffe, v18, v5
	v_fmac_f16_e32 v21, v51, v9
	v_med3_i32 v14, v11, 0, 13
	v_mul_f16_e32 v9, v54, v9
	s_or_b32 vcc_lo, s0, vcc_lo
	v_or_b32_e32 v13, 0x1000, v5
	s_wait_alu 0xfffe
	v_add_co_ci_u32_e32 v18, vcc_lo, 0, v12, vcc_lo
	v_cvt_f32_f16_e32 v11, v21
	v_cmp_ne_u32_e32 vcc_lo, 0, v15
	v_lshrrev_b32_e32 v21, v14, v13
	v_fma_f16 v9, v51, v16, -v9
	v_and_or_b32 v3, 0x1ff, v4, v3
	v_cvt_f64_f32_e32 v[11:12], v11
	s_wait_alu 0xfffd
	v_cndmask_b32_e64 v15, 0, 1, vcc_lo
	v_lshlrev_b32_e32 v14, v14, v21
	v_cmp_gt_i32_e32 vcc_lo, 31, v17
	v_cvt_f32_f16_e32 v9, v9
	v_add_nc_u32_e32 v19, 0xfffffc10, v19
	v_lshl_or_b32 v15, v15, 9, 0x7c00
	s_wait_alu 0xfffd
	v_cndmask_b32_e32 v18, 0x7c00, v18, vcc_lo
	v_cmp_ne_u32_e32 vcc_lo, v14, v13
	s_wait_alu 0xfffd
	v_cndmask_b32_e64 v13, 0, 1, vcc_lo
	v_cmp_eq_u32_e32 vcc_lo, 0x40f, v17
	v_lshl_or_b32 v17, v19, 12, v5
	s_delay_alu instid0(VALU_DEP_3)
	v_or_b32_e32 v16, v21, v13
	s_wait_alu 0xfffd
	v_cndmask_b32_e32 v15, v18, v15, vcc_lo
	v_cmp_ne_u32_e32 vcc_lo, 0, v3
	v_cvt_f64_f32_e32 v[13:14], v9
	v_lshrrev_b32_e32 v9, 8, v4
	v_bfe_u32 v18, v4, 20, 11
	v_and_or_b32 v15, 0x8000, v20, v15
	s_wait_alu 0xfffd
	v_cndmask_b32_e64 v3, 0, 1, vcc_lo
	v_cmp_gt_i32_e32 vcc_lo, 1, v19
	v_lshrrev_b32_e32 v4, 16, v4
	s_delay_alu instid0(VALU_DEP_3)
	v_and_or_b32 v9, 0xffe, v9, v3
	v_sub_nc_u32_e32 v3, 0x3f1, v18
	s_wait_alu 0xfffd
	v_dual_cndmask_b32 v16, v17, v16 :: v_dual_and_b32 v17, 0xffff, v22
	v_add_co_u32 v7, vcc_lo, v7, s2
	v_or_b32_e32 v21, 0x1000, v9
	v_med3_i32 v22, v3, 0, 13
	s_delay_alu instid0(VALU_DEP_4)
	v_and_b32_e32 v20, 7, v16
	ds_load_2addr_b32 v[2:3], v2 offset0:192 offset1:248
	v_lshl_or_b32 v24, v15, 16, v17
	s_wait_alu 0xfffd
	v_add_co_ci_u32_e32 v8, vcc_lo, s3, v8, vcc_lo
	v_lshrrev_b32_e32 v15, v22, v21
	v_cmp_lt_i32_e32 vcc_lo, 5, v20
	v_cmp_eq_u32_e64 s0, 3, v20
	v_lshrrev_b32_e32 v16, 2, v16
	v_mul_f64_e32 v[11:12], s[8:9], v[11:12]
	v_lshlrev_b32_e32 v17, v22, v15
	v_add_nc_u32_e32 v20, 0xfffffc10, v18
	s_or_b32 vcc_lo, s0, vcc_lo
	s_wait_alu 0xfffe
	v_add_co_ci_u32_e32 v16, vcc_lo, 0, v16, vcc_lo
	v_cmp_ne_u32_e32 vcc_lo, v17, v21
	s_wait_alu 0xfffd
	v_cndmask_b32_e64 v17, 0, 1, vcc_lo
	v_cmp_ne_u32_e32 vcc_lo, 0, v5
	s_wait_dscnt 0x0
	v_lshrrev_b32_e32 v18, 16, v2
	v_mul_f64_e32 v[13:14], s[8:9], v[13:14]
	v_or_b32_e32 v15, v15, v17
	s_wait_alu 0xfffd
	v_cndmask_b32_e64 v5, 0, 1, vcc_lo
	v_cmp_gt_i32_e32 vcc_lo, 31, v19
	v_mul_f16_e32 v21, v52, v18
	v_lshl_or_b32 v17, v20, 12, v9
	s_delay_alu instid0(VALU_DEP_4)
	v_lshl_or_b32 v5, v5, 9, 0x7c00
	s_wait_alu 0xfffd
	v_cndmask_b32_e32 v22, 0x7c00, v16, vcc_lo
	v_cmp_gt_i32_e32 vcc_lo, 1, v20
	v_fmac_f16_e32 v21, v50, v2
	v_mul_f16_e32 v2, v52, v2
	s_wait_alu 0xfffd
	v_cndmask_b32_e32 v17, v17, v15, vcc_lo
	v_add_co_u32 v15, vcc_lo, v7, s6
	s_wait_alu 0xfffd
	v_add_co_ci_u32_e32 v16, vcc_lo, s7, v8, vcc_lo
	s_delay_alu instid0(VALU_DEP_3)
	v_and_b32_e32 v25, 7, v17
	v_cvt_f32_f16_e32 v21, v21
	v_cmp_eq_u32_e32 vcc_lo, 0x40f, v19
	v_and_or_b32 v11, 0x1ff, v12, v11
	v_lshrrev_b32_e32 v17, 2, v17
	v_cmp_eq_u32_e64 s0, 3, v25
	v_fma_f16 v2, v50, v18, -v2
	s_wait_alu 0xfffd
	v_cndmask_b32_e32 v19, v22, v5, vcc_lo
	v_lshrrev_b32_e32 v22, 16, v6
	v_cvt_f64_f32_e32 v[5:6], v21
	v_cmp_lt_i32_e32 vcc_lo, 5, v25
	v_cmp_ne_u32_e64 s1, 0, v11
	v_lshrrev_b32_e32 v21, 8, v12
	v_bfe_u32 v25, v12, 20, 11
	v_cvt_f32_f16_e32 v2, v2
	s_or_b32 vcc_lo, s0, vcc_lo
	v_cndmask_b32_e64 v11, 0, 1, s1
	s_wait_alu 0xfffe
	v_add_co_ci_u32_e32 v17, vcc_lo, 0, v17, vcc_lo
	v_cmp_ne_u32_e32 vcc_lo, 0, v9
	v_and_or_b32 v13, 0x1ff, v14, v13
	v_and_or_b32 v11, 0xffe, v21, v11
	v_sub_nc_u32_e32 v21, 0x3f1, v25
	v_lshrrev_b32_e32 v29, 8, v14
	s_wait_alu 0xfffd
	v_cndmask_b32_e64 v9, 0, 1, vcc_lo
	v_cmp_gt_i32_e32 vcc_lo, 31, v20
	v_or_b32_e32 v26, 0x1000, v11
	v_med3_i32 v21, v21, 0, 13
	v_bfe_u32 v30, v14, 20, 11
	v_lshl_or_b32 v9, v9, 9, 0x7c00
	s_wait_alu 0xfffd
	v_cndmask_b32_e32 v27, 0x7c00, v17, vcc_lo
	v_cvt_f64_f32_e32 v[17:18], v2
	v_cmp_ne_u32_e32 vcc_lo, 0, v13
	v_lshrrev_b32_e32 v28, v21, v26
	v_and_or_b32 v19, 0x8000, v22, v19
	s_clause 0x1
	global_store_b32 v[7:8], v23, off
	global_store_b32 v[15:16], v24, off
	v_lshrrev_b32_e32 v14, 16, v14
	s_wait_alu 0xfffd
	v_cndmask_b32_e64 v13, 0, 1, vcc_lo
	v_lshlrev_b32_e32 v2, v21, v28
	v_cmp_eq_u32_e32 vcc_lo, 0x40f, v20
	v_sub_nc_u32_e32 v20, 0x3f1, v30
	v_add_nc_u32_e32 v21, 0xfffffc10, v25
	v_and_or_b32 v13, 0xffe, v29, v13
	s_wait_alu 0xfffd
	v_cndmask_b32_e32 v9, v27, v9, vcc_lo
	v_cmp_ne_u32_e32 vcc_lo, v2, v26
	v_med3_i32 v20, v20, 0, 13
	v_mul_f64_e32 v[5:6], s[8:9], v[5:6]
	v_or_b32_e32 v25, 0x1000, v13
	v_lshl_or_b32 v22, v21, 12, v11
	s_wait_alu 0xfffd
	v_cndmask_b32_e64 v2, 0, 1, vcc_lo
	v_cmp_gt_i32_e32 vcc_lo, 1, v21
	v_and_or_b32 v4, 0x8000, v4, v9
	v_lshrrev_b32_e32 v26, v20, v25
	v_and_b32_e32 v9, 0xffff, v19
	v_or_b32_e32 v2, v28, v2
	s_delay_alu instid0(VALU_DEP_3) | instskip(NEXT) | instid1(VALU_DEP_3)
	v_lshlrev_b32_e32 v19, v20, v26
	v_lshl_or_b32 v20, v4, 16, v9
	s_wait_alu 0xfffd
	s_delay_alu instid0(VALU_DEP_3) | instskip(NEXT) | instid1(VALU_DEP_3)
	v_cndmask_b32_e32 v2, v22, v2, vcc_lo
	v_cmp_ne_u32_e32 vcc_lo, v19, v25
	v_add_nc_u32_e32 v19, 0xfffffc10, v30
	s_delay_alu instid0(VALU_DEP_3)
	v_and_b32_e32 v4, 7, v2
	v_lshrrev_b32_e32 v2, 2, v2
	s_wait_alu 0xfffd
	v_cndmask_b32_e64 v9, 0, 1, vcc_lo
	v_add_co_u32 v7, vcc_lo, v15, s2
	s_wait_alu 0xfffd
	v_add_co_ci_u32_e32 v8, vcc_lo, s3, v16, vcc_lo
	v_mul_f64_e32 v[15:16], s[8:9], v[17:18]
	v_cmp_lt_i32_e32 vcc_lo, 5, v4
	v_cmp_eq_u32_e64 s0, 3, v4
	v_or_b32_e32 v9, v26, v9
	v_lshl_or_b32 v22, v19, 12, v13
	v_cmp_gt_i32_e64 s1, 1, v19
	global_store_b32 v[7:8], v20, off
	s_or_b32 vcc_lo, s0, vcc_lo
	s_wait_alu 0xfffe
	v_add_co_ci_u32_e32 v2, vcc_lo, 0, v2, vcc_lo
	v_cndmask_b32_e64 v4, v22, v9, s1
	v_cmp_ne_u32_e32 vcc_lo, 0, v11
	v_and_or_b32 v5, 0x1ff, v6, v5
	v_lshrrev_b32_e32 v9, 16, v10
	v_lshrrev_b32_e32 v22, 8, v6
	v_bfe_u32 v23, v6, 20, 11
	s_wait_alu 0xfffd
	v_cndmask_b32_e64 v11, 0, 1, vcc_lo
	v_cmp_gt_i32_e32 vcc_lo, 31, v21
	v_and_b32_e32 v17, 7, v4
	v_cmp_ne_u32_e64 s0, 0, v5
	v_mul_f16_e32 v18, v49, v9
	v_lshl_or_b32 v11, v11, 9, 0x7c00
	s_wait_alu 0xfffd
	v_cndmask_b32_e32 v2, 0x7c00, v2, vcc_lo
	v_cmp_lt_i32_e32 vcc_lo, 5, v17
	s_wait_alu 0xf1ff
	v_cndmask_b32_e64 v5, 0, 1, s0
	v_cmp_eq_u32_e64 s0, 3, v17
	v_lshrrev_b32_e32 v17, 2, v4
	v_fmac_f16_e32 v18, v47, v10
	v_sub_nc_u32_e32 v24, 0x3f1, v23
	v_and_or_b32 v22, 0xffe, v22, v5
	s_or_b32 vcc_lo, s0, vcc_lo
	v_mul_f16_e32 v10, v49, v10
	s_wait_alu 0xfffe
	v_add_co_ci_u32_e32 v17, vcc_lo, 0, v17, vcc_lo
	v_cvt_f32_f16_e32 v18, v18
	v_cmp_eq_u32_e32 vcc_lo, 0x40f, v21
	v_med3_i32 v24, v24, 0, 13
	v_and_or_b32 v15, 0x1ff, v16, v15
	v_fma_f16 v9, v47, v9, -v10
	v_cvt_f64_f32_e32 v[4:5], v18
	v_or_b32_e32 v18, 0x1000, v22
	s_wait_alu 0xfffd
	v_cndmask_b32_e32 v2, v2, v11, vcc_lo
	v_cmp_gt_i32_e32 vcc_lo, 31, v19
	v_lshrrev_b32_e32 v11, 16, v12
	v_cvt_f32_f16_e32 v9, v9
	v_lshrrev_b32_e32 v6, 16, v6
	s_wait_alu 0xfffd
	v_cndmask_b32_e32 v12, 0x7c00, v17, vcc_lo
	v_lshrrev_b32_e32 v17, v24, v18
	v_cmp_ne_u32_e32 vcc_lo, 0, v13
	v_and_or_b32 v2, 0x8000, v11, v2
	s_delay_alu instid0(VALU_DEP_3)
	v_lshlrev_b32_e32 v21, v24, v17
	s_wait_alu 0xfffd
	v_cndmask_b32_e64 v13, 0, 1, vcc_lo
	v_cmp_ne_u32_e32 vcc_lo, 0, v15
	v_lshrrev_b32_e32 v15, 8, v16
	v_bfe_u32 v24, v16, 20, 11
	v_and_b32_e32 v2, 0xffff, v2
	v_lshl_or_b32 v13, v13, 9, 0x7c00
	s_wait_alu 0xfffd
	v_cndmask_b32_e64 v10, 0, 1, vcc_lo
	v_cmp_ne_u32_e32 vcc_lo, v21, v18
	v_add_nc_u32_e32 v21, 0xfffffc10, v23
	v_sub_nc_u32_e32 v23, 0x3f1, v24
	v_lshrrev_b32_e32 v16, 16, v16
	v_and_or_b32 v15, 0xffe, v15, v10
	s_wait_alu 0xfffd
	v_cndmask_b32_e64 v18, 0, 1, vcc_lo
	v_cmp_eq_u32_e32 vcc_lo, 0x40f, v19
	v_cvt_f64_f32_e32 v[9:10], v9
	v_med3_i32 v23, v23, 0, 13
	v_or_b32_e32 v25, 0x1000, v15
	v_or_b32_e32 v17, v17, v18
	v_lshl_or_b32 v18, v21, 12, v22
	s_wait_alu 0xfffd
	v_cndmask_b32_e32 v12, v12, v13, vcc_lo
	v_cmp_gt_i32_e32 vcc_lo, 1, v21
	v_cmp_eq_u32_e64 s1, 0x40f, v21
	v_mul_f64_e32 v[4:5], s[8:9], v[4:5]
	s_delay_alu instid0(VALU_DEP_4) | instskip(SKIP_3) | instid1(VALU_DEP_3)
	v_and_or_b32 v12, 0x8000, v14, v12
	s_wait_alu 0xfffd
	v_cndmask_b32_e32 v13, v18, v17, vcc_lo
	v_lshrrev_b32_e32 v17, v23, v25
	v_lshl_or_b32 v2, v12, 16, v2
	s_delay_alu instid0(VALU_DEP_3) | instskip(NEXT) | instid1(VALU_DEP_3)
	v_and_b32_e32 v11, 7, v13
	v_lshlrev_b32_e32 v18, v23, v17
	s_delay_alu instid0(VALU_DEP_2) | instskip(NEXT) | instid1(VALU_DEP_2)
	v_cmp_lt_i32_e32 vcc_lo, 5, v11
	v_cmp_ne_u32_e64 s0, v18, v25
	v_add_nc_u32_e32 v18, 0xfffffc10, v24
	s_wait_alu 0xf1ff
	s_delay_alu instid0(VALU_DEP_2) | instskip(SKIP_3) | instid1(VALU_DEP_4)
	v_cndmask_b32_e64 v14, 0, 1, s0
	v_cmp_eq_u32_e64 s0, 3, v11
	v_lshrrev_b32_e32 v11, 2, v13
	v_lshl_or_b32 v13, v18, 12, v15
	v_or_b32_e32 v12, v17, v14
	s_delay_alu instid0(VALU_DEP_4)
	s_or_b32 vcc_lo, s0, vcc_lo
	s_wait_alu 0xfffe
	v_add_co_ci_u32_e32 v11, vcc_lo, 0, v11, vcc_lo
	v_cmp_ne_u32_e32 vcc_lo, 0, v22
	v_mul_f64_e32 v[9:10], s[8:9], v[9:10]
	s_wait_alu 0xfffd
	v_cndmask_b32_e64 v14, 0, 1, vcc_lo
	v_cmp_gt_i32_e32 vcc_lo, 1, v18
	v_and_or_b32 v4, 0x1ff, v5, v4
	s_wait_alu 0xfffd
	v_cndmask_b32_e32 v12, v13, v12, vcc_lo
	v_cmp_gt_i32_e32 vcc_lo, 31, v21
	v_lshl_or_b32 v13, v14, 9, 0x7c00
	v_lshrrev_b32_e32 v17, 8, v5
	v_bfe_u32 v19, v5, 20, 11
	s_wait_alu 0xfffd
	v_dual_cndmask_b32 v11, 0x7c00, v11 :: v_dual_and_b32 v14, 7, v12
	v_add_co_u32 v7, vcc_lo, v7, s6
	s_wait_alu 0xfffd
	v_add_co_ci_u32_e32 v8, vcc_lo, s7, v8, vcc_lo
	s_delay_alu instid0(VALU_DEP_3)
	v_cmp_lt_i32_e32 vcc_lo, 5, v14
	v_cmp_eq_u32_e64 s0, 3, v14
	v_cndmask_b32_e64 v13, v11, v13, s1
	v_lshrrev_b32_e32 v11, 2, v12
	v_lshrrev_b32_e32 v14, 16, v3
	global_store_b32 v[7:8], v2, off
	s_or_b32 vcc_lo, s0, vcc_lo
	v_and_or_b32 v6, 0x8000, v6, v13
	s_wait_alu 0xfffe
	v_add_co_ci_u32_e32 v11, vcc_lo, 0, v11, vcc_lo
	v_cmp_ne_u32_e32 vcc_lo, 0, v4
	v_mul_f16_e32 v12, v48, v14
	v_and_b32_e32 v6, 0xffff, v6
	v_lshrrev_b32_e32 v5, 16, v5
	s_wait_alu 0xfffd
	v_cndmask_b32_e64 v4, 0, 1, vcc_lo
	v_cmp_ne_u32_e32 vcc_lo, 0, v15
	v_fmac_f16_e32 v12, v46, v3
	v_and_or_b32 v9, 0x1ff, v10, v9
	v_lshrrev_b32_e32 v13, 8, v10
	v_and_or_b32 v17, 0xffe, v17, v4
	v_sub_nc_u32_e32 v4, 0x3f1, v19
	s_wait_alu 0xfffd
	v_cndmask_b32_e64 v15, 0, 1, vcc_lo
	v_cmp_gt_i32_e32 vcc_lo, 31, v18
	v_cvt_f32_f16_e32 v12, v12
	v_or_b32_e32 v21, 0x1000, v17
	v_med3_i32 v4, v4, 0, 13
	v_lshl_or_b32 v15, v15, 9, 0x7c00
	s_wait_alu 0xfffd
	v_cndmask_b32_e32 v20, 0x7c00, v11, vcc_lo
	v_cmp_eq_u32_e32 vcc_lo, 0x40f, v18
	v_cvt_f64_f32_e32 v[11:12], v12
	v_lshrrev_b32_e32 v18, v4, v21
	v_add_nc_u32_e32 v19, 0xfffffc10, v19
	s_wait_alu 0xfffd
	v_cndmask_b32_e32 v15, v20, v15, vcc_lo
	v_cmp_ne_u32_e32 vcc_lo, 0, v9
	v_lshlrev_b32_e32 v4, v4, v18
	s_delay_alu instid0(VALU_DEP_3)
	v_and_or_b32 v20, 0x8000, v16, v15
	s_wait_alu 0xfffd
	v_cndmask_b32_e64 v9, 0, 1, vcc_lo
	v_bfe_u32 v15, v10, 20, 11
	v_cmp_ne_u32_e32 vcc_lo, v4, v21
	v_mul_f16_e32 v16, v48, v3
	v_mad_co_u64_u32 v[2:3], null, s4, v44, 0
	v_and_or_b32 v9, 0xffe, v13, v9
	v_sub_nc_u32_e32 v13, 0x3f1, v15
	s_wait_alu 0xfffd
	v_cndmask_b32_e64 v4, 0, 1, vcc_lo
	v_fma_f16 v14, v46, v14, -v16
	v_cmp_gt_i32_e32 vcc_lo, 1, v19
	v_or_b32_e32 v16, 0x1000, v9
	v_med3_i32 v21, v13, 0, 13
	v_or_b32_e32 v4, v18, v4
	v_lshl_or_b32 v18, v19, 12, v17
	v_add_nc_u32_e32 v24, 0xfffffc10, v15
	v_lshl_or_b32 v20, v20, 16, v6
	v_lshrrev_b32_e32 v22, v21, v16
	v_cvt_f32_f16_e32 v14, v14
	s_wait_alu 0xfffd
	v_cndmask_b32_e32 v18, v18, v4, vcc_lo
	v_mad_co_u64_u32 v[3:4], null, s5, v44, v[3:4]
	v_lshlrev_b32_e32 v4, v21, v22
	v_cmp_gt_i32_e64 s1, 1, v24
	s_delay_alu instid0(VALU_DEP_4)
	v_and_b32_e32 v21, 7, v18
	v_lshrrev_b32_e32 v18, 2, v18
	v_cvt_f64_f32_e32 v[13:14], v14
	v_cmp_ne_u32_e32 vcc_lo, v4, v16
	v_mul_f64_e32 v[11:12], s[8:9], v[11:12]
	v_cmp_eq_u32_e64 s0, 3, v21
	v_lshlrev_b64_e32 v[2:3], 2, v[2:3]
	s_wait_alu 0xfffd
	v_cndmask_b32_e64 v4, 0, 1, vcc_lo
	v_cmp_lt_i32_e32 vcc_lo, 5, v21
	s_delay_alu instid0(VALU_DEP_2) | instskip(SKIP_4) | instid1(VALU_DEP_2)
	v_or_b32_e32 v4, v22, v4
	v_lshl_or_b32 v22, v24, 12, v9
	s_or_b32 vcc_lo, s0, vcc_lo
	s_wait_alu 0xfffe
	v_add_co_ci_u32_e32 v18, vcc_lo, 0, v18, vcc_lo
	v_cndmask_b32_e64 v4, v22, v4, s1
	v_cmp_gt_i32_e32 vcc_lo, 31, v19
	s_delay_alu instid0(VALU_DEP_2)
	v_and_b32_e32 v6, 7, v4
	s_wait_alu 0xfffd
	v_cndmask_b32_e32 v18, 0x7c00, v18, vcc_lo
	v_cmp_ne_u32_e32 vcc_lo, 0, v17
	v_lshrrev_b32_e32 v4, 2, v4
	v_cmp_eq_u32_e64 s0, 3, v6
	s_wait_alu 0xfffd
	v_cndmask_b32_e64 v17, 0, 1, vcc_lo
	v_cmp_lt_i32_e32 vcc_lo, 5, v6
	s_delay_alu instid0(VALU_DEP_2)
	v_lshl_or_b32 v6, v17, 9, 0x7c00
	s_or_b32 vcc_lo, s0, vcc_lo
	s_wait_alu 0xfffe
	v_add_co_ci_u32_e32 v4, vcc_lo, 0, v4, vcc_lo
	v_cmp_eq_u32_e32 vcc_lo, 0x40f, v19
	v_and_or_b32 v11, 0x1ff, v12, v11
	v_mul_f64_e32 v[13:14], s[8:9], v[13:14]
	v_lshrrev_b32_e32 v19, 8, v12
	v_bfe_u32 v22, v12, 20, 11
	s_wait_alu 0xfffd
	v_cndmask_b32_e32 v6, v18, v6, vcc_lo
	v_cmp_gt_i32_e32 vcc_lo, 31, v24
	v_lshrrev_b32_e32 v12, 16, v12
	s_wait_alu 0xfffd
	v_cndmask_b32_e32 v4, 0x7c00, v4, vcc_lo
	v_cmp_ne_u32_e32 vcc_lo, 0, v9
	s_wait_alu 0xfffd
	v_cndmask_b32_e64 v9, 0, 1, vcc_lo
	v_cmp_ne_u32_e32 vcc_lo, 0, v11
	s_delay_alu instid0(VALU_DEP_2) | instskip(SKIP_3) | instid1(VALU_DEP_2)
	v_lshl_or_b32 v9, v9, 9, 0x7c00
	s_wait_alu 0xfffd
	v_cndmask_b32_e64 v11, 0, 1, vcc_lo
	v_cmp_eq_u32_e32 vcc_lo, 0x40f, v24
	v_and_or_b32 v11, 0xffe, v19, v11
	s_wait_alu 0xfffd
	v_cndmask_b32_e32 v4, v4, v9, vcc_lo
	v_add_co_u32 v0, vcc_lo, v0, v2
	s_wait_alu 0xfffd
	v_add_co_ci_u32_e32 v1, vcc_lo, v1, v3, vcc_lo
	v_mad_co_u64_u32 v[2:3], null, 0xe0, s4, v[7:8]
	v_add_nc_u32_e32 v23, 0x200, v39
	global_store_b32 v[0:1], v20, off
	v_sub_nc_u32_e32 v19, 0x3f1, v22
	v_lshrrev_b32_e32 v9, 16, v10
	v_or_b32_e32 v10, 0x1000, v11
	v_lshrrev_b32_e32 v8, 8, v14
	v_mov_b32_e32 v0, v3
	ds_load_2addr_b32 v[15:16], v23 offset0:96 offset1:152
	v_med3_i32 v19, v19, 0, 13
	v_and_or_b32 v23, 0x8000, v5, v6
	v_and_or_b32 v24, 0x8000, v9, v4
	;; [unrolled: 1-line block ×3, first 2 shown]
	v_bfe_u32 v13, v14, 20, 11
	v_lshrrev_b32_e32 v9, v19, v10
	v_mad_co_u64_u32 v[0:1], null, 0xe0, s5, v[0:1]
	s_delay_alu instid0(VALU_DEP_4) | instskip(NEXT) | instid1(VALU_DEP_3)
	v_cmp_ne_u32_e32 vcc_lo, 0, v5
	v_lshlrev_b32_e32 v6, v19, v9
	v_add_nc_u32_e32 v19, 0xfffffc10, v22
	s_wait_alu 0xfffd
	v_cndmask_b32_e64 v7, 0, 1, vcc_lo
	s_delay_alu instid0(VALU_DEP_3) | instskip(NEXT) | instid1(VALU_DEP_3)
	v_cmp_ne_u32_e32 vcc_lo, v6, v10
	v_lshl_or_b32 v22, v19, 12, v11
	s_wait_dscnt 0x0
	v_lshrrev_b32_e32 v21, 16, v15
	s_wait_alu 0xfffd
	v_cndmask_b32_e64 v10, 0, 1, vcc_lo
	v_cmp_gt_i32_e32 vcc_lo, 1, v19
	s_delay_alu instid0(VALU_DEP_3) | instskip(NEXT) | instid1(VALU_DEP_3)
	v_mul_f16_e32 v17, v45, v21
	v_or_b32_e32 v10, v9, v10
	s_delay_alu instid0(VALU_DEP_2) | instskip(SKIP_2) | instid1(VALU_DEP_3)
	v_fmac_f16_e32 v17, v43, v15
	v_mul_f16_e32 v15, v45, v15
	s_wait_alu 0xfffd
	v_cndmask_b32_e32 v10, v22, v10, vcc_lo
	s_delay_alu instid0(VALU_DEP_3) | instskip(NEXT) | instid1(VALU_DEP_3)
	v_cvt_f32_f16_e32 v17, v17
	v_fma_f16 v4, v43, v21, -v15
	v_and_or_b32 v21, 0xffe, v8, v7
	s_delay_alu instid0(VALU_DEP_3) | instskip(NEXT) | instid1(VALU_DEP_3)
	v_cvt_f64_f32_e32 v[17:18], v17
	v_cvt_f32_f16_e32 v4, v4
	s_delay_alu instid0(VALU_DEP_3) | instskip(NEXT) | instid1(VALU_DEP_2)
	v_or_b32_e32 v25, 0x1000, v21
	v_cvt_f64_f32_e32 v[4:5], v4
	s_delay_alu instid0(VALU_DEP_4) | instskip(SKIP_3) | instid1(VALU_DEP_3)
	v_mul_f64_e32 v[8:9], s[8:9], v[17:18]
	v_and_b32_e32 v18, 7, v10
	v_lshrrev_b32_e32 v10, 2, v10
	v_and_b32_e32 v17, 0xffff, v23
	v_cmp_lt_i32_e32 vcc_lo, 5, v18
	v_cmp_eq_u32_e64 s0, 3, v18
	v_mul_f64_e32 v[4:5], s[8:9], v[4:5]
	s_delay_alu instid0(VALU_DEP_4) | instskip(NEXT) | instid1(VALU_DEP_3)
	v_lshl_or_b32 v17, v24, 16, v17
	s_or_b32 vcc_lo, s0, vcc_lo
	s_wait_alu 0xfffe
	v_add_co_ci_u32_e32 v10, vcc_lo, 0, v10, vcc_lo
	v_cmp_ne_u32_e32 vcc_lo, 0, v11
	s_wait_alu 0xfffd
	v_cndmask_b32_e64 v11, 0, 1, vcc_lo
	s_delay_alu instid0(VALU_DEP_1) | instskip(SKIP_4) | instid1(VALU_DEP_2)
	v_lshl_or_b32 v22, v11, 9, 0x7c00
	v_add_nc_u32_e32 v15, 0x800, v39
	ds_load_2addr_b32 v[6:7], v15 offset0:48 offset1:104
	v_sub_nc_u32_e32 v15, 0x3f1, v13
	v_add_nc_u32_e32 v13, 0xfffffc10, v13
	v_med3_i32 v15, v15, 0, 13
	s_delay_alu instid0(VALU_DEP_2) | instskip(SKIP_1) | instid1(VALU_DEP_3)
	v_cmp_gt_i32_e32 vcc_lo, 1, v13
	v_and_or_b32 v8, 0x1ff, v9, v8
	v_lshrrev_b32_e32 v3, v15, v25
	s_delay_alu instid0(VALU_DEP_2) | instskip(SKIP_1) | instid1(VALU_DEP_3)
	v_cmp_ne_u32_e64 s0, 0, v8
	v_bfe_u32 v23, v5, 20, 11
	v_lshlrev_b32_e32 v1, v15, v3
	s_wait_alu 0xf1ff
	s_delay_alu instid0(VALU_DEP_3) | instskip(SKIP_3) | instid1(VALU_DEP_2)
	v_cndmask_b32_e64 v8, 0, 1, s0
	s_wait_dscnt 0x0
	v_lshrrev_b32_e32 v15, 16, v6
	v_cmp_ne_u32_e64 s1, v1, v25
	v_mul_f16_e32 v18, v42, v15
	s_wait_alu 0xf1ff
	s_delay_alu instid0(VALU_DEP_2) | instskip(NEXT) | instid1(VALU_DEP_2)
	v_cndmask_b32_e64 v1, 0, 1, s1
	v_fmac_f16_e32 v18, v41, v6
	s_delay_alu instid0(VALU_DEP_2) | instskip(SKIP_2) | instid1(VALU_DEP_4)
	v_or_b32_e32 v1, v3, v1
	v_lshl_or_b32 v3, v13, 12, v21
	v_mul_f16_e32 v6, v42, v6
	v_cvt_f32_f16_e32 v18, v18
	s_wait_alu 0xfffd
	s_delay_alu instid0(VALU_DEP_3)
	v_cndmask_b32_e32 v1, v3, v1, vcc_lo
	v_cmp_gt_i32_e32 vcc_lo, 31, v19
	v_mov_b32_e32 v3, v0
	v_fma_f16 v6, v41, v15, -v6
	s_wait_alu 0xfffd
	v_cndmask_b32_e32 v20, 0x7c00, v10, vcc_lo
	v_cvt_f64_f32_e32 v[10:11], v18
	v_and_b32_e32 v18, 7, v1
	v_cmp_eq_u32_e32 vcc_lo, 0x40f, v19
	v_lshrrev_b32_e32 v1, 2, v1
	v_lshrrev_b32_e32 v19, 8, v9
	v_cvt_f32_f16_e32 v6, v6
	v_cmp_eq_u32_e64 s0, 3, v18
	s_wait_alu 0xfffd
	v_cndmask_b32_e32 v0, v20, v22, vcc_lo
	v_cmp_lt_i32_e32 vcc_lo, 5, v18
	v_bfe_u32 v20, v9, 20, 11
	v_and_or_b32 v8, 0xffe, v19, v8
	global_store_b32 v[2:3], v17, off
	v_and_or_b32 v12, 0x8000, v12, v0
	s_or_b32 vcc_lo, s0, vcc_lo
	v_sub_nc_u32_e32 v18, 0x3f1, v20
	s_wait_alu 0xfffe
	v_add_co_ci_u32_e32 v1, vcc_lo, 0, v1, vcc_lo
	v_cmp_ne_u32_e32 vcc_lo, 0, v21
	v_or_b32_e32 v21, 0x1000, v8
	v_med3_i32 v18, v18, 0, 13
	v_and_or_b32 v0, 0x1ff, v5, v4
	v_and_b32_e32 v12, 0xffff, v12
	s_wait_alu 0xfffd
	v_cndmask_b32_e64 v19, 0, 1, vcc_lo
	v_cmp_gt_i32_e32 vcc_lo, 31, v13
	v_lshrrev_b32_e32 v22, v18, v21
	v_lshrrev_b32_e32 v9, 16, v9
	s_delay_alu instid0(VALU_DEP_4)
	v_lshl_or_b32 v19, v19, 9, 0x7c00
	s_wait_alu 0xfffd
	v_cndmask_b32_e32 v1, 0x7c00, v1, vcc_lo
	v_cmp_eq_u32_e32 vcc_lo, 0x40f, v13
	v_lshrrev_b32_e32 v13, 16, v14
	v_lshlrev_b32_e32 v14, v18, v22
	s_wait_alu 0xfffd
	v_cndmask_b32_e32 v4, v1, v19, vcc_lo
	v_cmp_ne_u32_e32 vcc_lo, 0, v0
	v_lshrrev_b32_e32 v19, 8, v5
	v_lshrrev_b32_e32 v5, 16, v5
	v_mul_f64_e32 v[0:1], s[8:9], v[10:11]
	v_and_or_b32 v4, 0x8000, v13, v4
	s_wait_alu 0xfffd
	v_cndmask_b32_e64 v18, 0, 1, vcc_lo
	v_cmp_ne_u32_e32 vcc_lo, v14, v21
	v_add_nc_u32_e32 v14, 0xfffffc10, v20
	v_lshl_or_b32 v17, v4, 16, v12
	s_delay_alu instid0(VALU_DEP_4)
	v_and_or_b32 v15, 0xffe, v19, v18
	s_wait_alu 0xfffd
	v_cndmask_b32_e64 v10, 0, 1, vcc_lo
	v_sub_nc_u32_e32 v18, 0x3f1, v23
	v_lshl_or_b32 v20, v14, 12, v8
	v_cmp_gt_i32_e32 vcc_lo, 1, v14
	v_or_b32_e32 v21, 0x1000, v15
	v_or_b32_e32 v19, v22, v10
	v_cvt_f64_f32_e32 v[10:11], v6
	v_med3_i32 v6, v18, 0, 13
	v_cmp_eq_u32_e64 s1, 0x40f, v14
	s_wait_alu 0xfffd
	v_cndmask_b32_e32 v13, v20, v19, vcc_lo
	v_add_co_u32 v2, vcc_lo, v2, s2
	v_lshrrev_b32_e32 v18, v6, v21
	v_lshrrev_b32_e32 v19, 16, v16
	s_delay_alu instid0(VALU_DEP_4)
	v_and_b32_e32 v4, 7, v13
	s_wait_alu 0xfffd
	v_add_co_ci_u32_e32 v3, vcc_lo, s3, v3, vcc_lo
	v_lshlrev_b32_e32 v6, v6, v18
	v_add_nc_u32_e32 v20, 0xfffffc10, v23
	v_cmp_lt_i32_e32 vcc_lo, 5, v4
	v_mul_f16_e32 v12, v40, v19
	s_delay_alu instid0(VALU_DEP_4) | instskip(NEXT) | instid1(VALU_DEP_2)
	v_cmp_ne_u32_e64 s0, v6, v21
	v_fmac_f16_e32 v12, v38, v16
	s_wait_alu 0xf1ff
	s_delay_alu instid0(VALU_DEP_2)
	v_cndmask_b32_e64 v6, 0, 1, s0
	v_cmp_eq_u32_e64 s0, 3, v4
	v_lshrrev_b32_e32 v4, 2, v13
	v_lshl_or_b32 v13, v20, 12, v15
	v_and_or_b32 v0, 0x1ff, v1, v0
	v_or_b32_e32 v6, v18, v6
	s_or_b32 vcc_lo, s0, vcc_lo
	v_cvt_f32_f16_e32 v12, v12
	s_wait_alu 0xfffe
	v_add_co_ci_u32_e32 v4, vcc_lo, 0, v4, vcc_lo
	v_cmp_gt_i32_e32 vcc_lo, 1, v20
	v_lshrrev_b32_e32 v18, 8, v1
	v_bfe_u32 v21, v1, 20, 11
	s_wait_alu 0xfffd
	v_cndmask_b32_e32 v6, v13, v6, vcc_lo
	v_cmp_ne_u32_e32 vcc_lo, 0, v0
	v_cvt_f64_f32_e32 v[12:13], v12
	v_mul_f64_e32 v[10:11], s[8:9], v[10:11]
	s_delay_alu instid0(VALU_DEP_4)
	v_and_b32_e32 v22, 7, v6
	s_wait_alu 0xfffd
	v_cndmask_b32_e64 v0, 0, 1, vcc_lo
	v_cmp_ne_u32_e32 vcc_lo, 0, v8
	v_lshrrev_b32_e32 v6, 2, v6
	v_cmp_eq_u32_e64 s0, 3, v22
	s_delay_alu instid0(VALU_DEP_4)
	v_and_or_b32 v0, 0xffe, v18, v0
	s_wait_alu 0xfffd
	v_cndmask_b32_e64 v8, 0, 1, vcc_lo
	v_cmp_gt_i32_e32 vcc_lo, 31, v14
	v_sub_nc_u32_e32 v18, 0x3f1, v21
	v_or_b32_e32 v23, 0x1000, v0
	s_delay_alu instid0(VALU_DEP_4) | instskip(SKIP_4) | instid1(VALU_DEP_3)
	v_lshl_or_b32 v8, v8, 9, 0x7c00
	s_wait_alu 0xfffd
	v_cndmask_b32_e32 v4, 0x7c00, v4, vcc_lo
	v_cmp_lt_i32_e32 vcc_lo, 5, v22
	v_med3_i32 v18, v18, 0, 13
	v_cndmask_b32_e64 v4, v4, v8, s1
	s_or_b32 vcc_lo, s0, vcc_lo
	s_delay_alu instid0(VALU_DEP_2)
	v_lshrrev_b32_e32 v8, v18, v23
	s_wait_alu 0xfffe
	v_add_co_ci_u32_e32 v6, vcc_lo, 0, v6, vcc_lo
	v_cmp_ne_u32_e32 vcc_lo, 0, v15
	s_wait_alu 0xfffd
	v_cndmask_b32_e64 v14, 0, 1, vcc_lo
	v_cmp_gt_i32_e32 vcc_lo, 31, v20
	v_lshlrev_b32_e32 v15, v18, v8
	v_and_or_b32 v18, 0x8000, v9, v4
	s_delay_alu instid0(VALU_DEP_4)
	v_lshl_or_b32 v14, v14, 9, 0x7c00
	s_wait_alu 0xfffd
	v_cndmask_b32_e32 v6, 0x7c00, v6, vcc_lo
	v_cmp_ne_u32_e32 vcc_lo, v15, v23
	v_and_or_b32 v10, 0x1ff, v11, v10
	s_wait_alu 0xfffd
	v_cndmask_b32_e64 v15, 0, 1, vcc_lo
	v_cmp_eq_u32_e32 vcc_lo, 0x40f, v20
	s_wait_alu 0xfffd
	v_dual_cndmask_b32 v4, v6, v14 :: v_dual_add_nc_u32 v21, 0xfffffc10, v21
	s_delay_alu instid0(VALU_DEP_3) | instskip(SKIP_2) | instid1(VALU_DEP_4)
	v_or_b32_e32 v6, v8, v15
	v_mul_f64_e32 v[8:9], s[8:9], v[12:13]
	v_mul_f16_e32 v14, v40, v16
	v_lshl_or_b32 v12, v21, 12, v0
	v_cmp_gt_i32_e32 vcc_lo, 1, v21
	v_and_or_b32 v15, 0x8000, v5, v4
	s_delay_alu instid0(VALU_DEP_4)
	v_fma_f16 v13, v38, v19, -v14
	v_lshrrev_b32_e32 v19, 16, v7
	s_wait_alu 0xfffd
	v_cndmask_b32_e32 v6, v12, v6, vcc_lo
	v_cmp_ne_u32_e32 vcc_lo, 0, v10
	v_bfe_u32 v14, v11, 20, 11
	v_cvt_f32_f16_e32 v12, v13
	v_lshrrev_b32_e32 v13, 8, v11
	v_mul_f16_e32 v20, v37, v19
	s_wait_alu 0xfffd
	v_cndmask_b32_e64 v10, 0, 1, vcc_lo
	v_and_b32_e32 v16, 7, v6
	v_cvt_f64_f32_e32 v[4:5], v12
	v_sub_nc_u32_e32 v12, 0x3f1, v14
	v_fmac_f16_e32 v20, v36, v7
	v_and_or_b32 v10, 0xffe, v13, v10
	v_add_nc_u32_e32 v14, 0xfffffc10, v14
	v_mul_f16_e32 v7, v37, v7
	v_cmp_lt_i32_e32 vcc_lo, 5, v16
	v_cmp_eq_u32_e64 s0, 3, v16
	v_lshrrev_b32_e32 v6, 2, v6
	v_med3_i32 v12, v12, 0, 13
	v_fma_f16 v7, v36, v19, -v7
	v_lshl_or_b32 v19, v14, 12, v10
	v_and_b32_e32 v13, 0xffff, v18
	v_or_b32_e32 v18, 0x1000, v10
	s_or_b32 vcc_lo, s0, vcc_lo
	v_cvt_f32_f16_e32 v7, v7
	s_wait_alu 0xfffe
	v_add_co_ci_u32_e32 v6, vcc_lo, 0, v6, vcc_lo
	v_lshrrev_b32_e32 v16, v12, v18
	v_cmp_ne_u32_e32 vcc_lo, 0, v0
	s_delay_alu instid0(VALU_DEP_2) | instskip(SKIP_4) | instid1(VALU_DEP_3)
	v_lshlrev_b32_e32 v22, v12, v16
	s_wait_alu 0xfffd
	v_cndmask_b32_e64 v0, 0, 1, vcc_lo
	v_cmp_gt_i32_e32 vcc_lo, 31, v21
	v_cvt_f32_f16_e32 v12, v20
	v_lshl_or_b32 v0, v0, 9, 0x7c00
	s_wait_alu 0xfffd
	v_cndmask_b32_e32 v20, 0x7c00, v6, vcc_lo
	v_and_or_b32 v6, 0x1ff, v9, v8
	v_cmp_ne_u32_e32 vcc_lo, v22, v18
	v_lshrrev_b32_e32 v18, 8, v9
	s_wait_alu 0xfffd
	v_cndmask_b32_e64 v8, 0, 1, vcc_lo
	v_cmp_ne_u32_e32 vcc_lo, 0, v6
	v_mul_f64_e32 v[4:5], s[8:9], v[4:5]
	s_delay_alu instid0(VALU_DEP_3)
	v_or_b32_e32 v8, v16, v8
	s_wait_alu 0xfffd
	v_cndmask_b32_e64 v6, 0, 1, vcc_lo
	v_cmp_gt_i32_e32 vcc_lo, 1, v14
	v_bfe_u32 v16, v9, 20, 11
	v_lshrrev_b32_e32 v9, 16, v9
	s_delay_alu instid0(VALU_DEP_4)
	v_and_or_b32 v18, 0xffe, v18, v6
	s_wait_alu 0xfffd
	v_cndmask_b32_e32 v8, v19, v8, vcc_lo
	v_lshl_or_b32 v15, v15, 16, v13
	v_cvt_f64_f32_e32 v[12:13], v12
	v_sub_nc_u32_e32 v6, 0x3f1, v16
	v_cmp_eq_u32_e32 vcc_lo, 0x40f, v21
	v_or_b32_e32 v19, 0x1000, v18
	v_and_b32_e32 v23, 7, v8
	v_lshrrev_b32_e32 v21, 16, v1
	v_med3_i32 v22, v6, 0, 13
	v_cvt_f64_f32_e32 v[6:7], v7
	s_wait_alu 0xfffd
	v_cndmask_b32_e32 v20, v20, v0, vcc_lo
	v_add_co_u32 v0, vcc_lo, v2, s6
	v_lshrrev_b32_e32 v24, v22, v19
	s_wait_alu 0xfffd
	v_add_co_ci_u32_e32 v1, vcc_lo, s7, v3, vcc_lo
	v_cmp_lt_i32_e32 vcc_lo, 5, v23
	v_cmp_eq_u32_e64 s0, 3, v23
	v_lshrrev_b32_e32 v8, 2, v8
	v_lshlrev_b32_e32 v22, v22, v24
	v_add_nc_u32_e32 v16, 0xfffffc10, v16
	v_and_or_b32 v20, 0x8000, v21, v20
	s_or_b32 vcc_lo, s0, vcc_lo
	s_wait_alu 0xfffe
	v_add_co_ci_u32_e32 v8, vcc_lo, 0, v8, vcc_lo
	v_cmp_ne_u32_e64 s1, v22, v19
	v_cmp_ne_u32_e32 vcc_lo, 0, v10
	v_lshl_or_b32 v21, v16, 12, v18
	v_and_or_b32 v4, 0x1ff, v5, v4
	s_wait_alu 0xf1ff
	v_cndmask_b32_e64 v19, 0, 1, s1
	s_wait_alu 0xfffd
	v_cndmask_b32_e64 v10, 0, 1, vcc_lo
	v_cmp_gt_i32_e32 vcc_lo, 31, v14
	s_delay_alu instid0(VALU_DEP_3) | instskip(NEXT) | instid1(VALU_DEP_3)
	v_or_b32_e32 v19, v24, v19
	v_lshl_or_b32 v10, v10, 9, 0x7c00
	s_wait_alu 0xfffd
	v_cndmask_b32_e32 v8, 0x7c00, v8, vcc_lo
	v_cmp_gt_i32_e32 vcc_lo, 1, v16
	v_mul_f64_e32 v[12:13], s[8:9], v[12:13]
	s_wait_alu 0xfffd
	v_cndmask_b32_e32 v19, v21, v19, vcc_lo
	v_cmp_eq_u32_e32 vcc_lo, 0x40f, v14
	v_lshrrev_b32_e32 v14, 8, v5
	v_mul_f64_e32 v[6:7], s[8:9], v[6:7]
	v_bfe_u32 v21, v5, 20, 11
	v_lshrrev_b32_e32 v5, 16, v5
	s_wait_alu 0xfffd
	v_cndmask_b32_e32 v8, v8, v10, vcc_lo
	v_lshrrev_b32_e32 v10, 16, v11
	v_cmp_ne_u32_e32 vcc_lo, 0, v4
	v_and_b32_e32 v11, 7, v19
	s_delay_alu instid0(VALU_DEP_3)
	v_and_or_b32 v8, 0x8000, v10, v8
	v_and_b32_e32 v10, 0xffff, v20
	s_wait_alu 0xfffd
	v_cndmask_b32_e64 v4, 0, 1, vcc_lo
	v_cmp_lt_i32_e32 vcc_lo, 5, v11
	v_cmp_eq_u32_e64 s0, 3, v11
	v_lshl_or_b32 v10, v8, 16, v10
	v_lshrrev_b32_e32 v8, 2, v19
	v_and_or_b32 v4, 0xffe, v14, v4
	v_sub_nc_u32_e32 v14, 0x3f1, v21
	s_or_b32 vcc_lo, s0, vcc_lo
	s_wait_alu 0xfffe
	v_add_co_ci_u32_e32 v8, vcc_lo, 0, v8, vcc_lo
	v_or_b32_e32 v11, 0x1000, v4
	v_med3_i32 v14, v14, 0, 13
	v_cmp_ne_u32_e32 vcc_lo, 0, v18
	s_delay_alu instid0(VALU_DEP_2)
	v_lshrrev_b32_e32 v19, v14, v11
	s_wait_alu 0xfffd
	v_cndmask_b32_e64 v18, 0, 1, vcc_lo
	v_and_or_b32 v12, 0x1ff, v13, v12
	v_cmp_gt_i32_e32 vcc_lo, 31, v16
	v_lshrrev_b32_e32 v20, 8, v13
	v_lshlrev_b32_e32 v14, v14, v19
	v_bfe_u32 v22, v13, 20, 11
	v_lshl_or_b32 v18, v18, 9, 0x7c00
	s_wait_alu 0xfffd
	v_cndmask_b32_e32 v8, 0x7c00, v8, vcc_lo
	v_cmp_ne_u32_e32 vcc_lo, 0, v12
	v_and_or_b32 v6, 0x1ff, v7, v6
	s_wait_alu 0xfffd
	v_cndmask_b32_e64 v12, 0, 1, vcc_lo
	v_cmp_ne_u32_e32 vcc_lo, v14, v11
	v_add_nc_u32_e32 v14, 0xfffffc10, v21
	v_bfe_u32 v21, v7, 20, 11
	s_delay_alu instid0(VALU_DEP_4)
	v_and_or_b32 v12, 0xffe, v20, v12
	s_wait_alu 0xfffd
	v_cndmask_b32_e64 v11, 0, 1, vcc_lo
	v_sub_nc_u32_e32 v20, 0x3f1, v22
	v_cmp_eq_u32_e32 vcc_lo, 0x40f, v16
	v_lshl_or_b32 v16, v14, 12, v4
	s_delay_alu instid0(VALU_DEP_4) | instskip(NEXT) | instid1(VALU_DEP_4)
	v_or_b32_e32 v11, v19, v11
	v_med3_i32 v19, v20, 0, 13
	s_wait_alu 0xfffd
	v_cndmask_b32_e32 v8, v8, v18, vcc_lo
	v_or_b32_e32 v18, 0x1000, v12
	v_cmp_gt_i32_e32 vcc_lo, 1, v14
	v_lshrrev_b32_e32 v20, 8, v7
	v_lshrrev_b32_e32 v7, 16, v7
	v_and_or_b32 v8, 0x8000, v9, v8
	v_sub_nc_u32_e32 v9, 0x3f1, v21
	s_wait_alu 0xfffd
	v_cndmask_b32_e32 v11, v16, v11, vcc_lo
	v_lshrrev_b32_e32 v16, v19, v18
	v_cmp_ne_u32_e32 vcc_lo, 0, v6
	v_and_b32_e32 v8, 0xffff, v8
	v_med3_i32 v9, v9, 0, 13
	v_and_b32_e32 v23, 7, v11
	v_lshlrev_b32_e32 v19, v19, v16
	s_wait_alu 0xfffd
	v_cndmask_b32_e64 v6, 0, 1, vcc_lo
	v_lshrrev_b32_e32 v11, 2, v11
	v_cmp_lt_i32_e32 vcc_lo, 5, v23
	v_cmp_ne_u32_e64 s0, v19, v18
	s_delay_alu instid0(VALU_DEP_4) | instskip(SKIP_2) | instid1(VALU_DEP_3)
	v_and_or_b32 v6, 0xffe, v20, v6
	v_add_nc_u32_e32 v20, 0xfffffc10, v22
	s_wait_alu 0xf1ff
	v_cndmask_b32_e64 v18, 0, 1, s0
	v_cmp_eq_u32_e64 s0, 3, v23
	v_or_b32_e32 v19, 0x1000, v6
	v_lshl_or_b32 v22, v20, 12, v12
	s_delay_alu instid0(VALU_DEP_4) | instskip(NEXT) | instid1(VALU_DEP_4)
	v_or_b32_e32 v16, v16, v18
	s_or_b32 vcc_lo, s0, vcc_lo
	s_delay_alu instid0(VALU_DEP_3)
	v_lshrrev_b32_e32 v18, v9, v19
	s_wait_alu 0xfffe
	v_add_co_ci_u32_e32 v11, vcc_lo, 0, v11, vcc_lo
	v_cmp_gt_i32_e32 vcc_lo, 1, v20
	s_wait_alu 0xfffd
	v_dual_cndmask_b32 v16, v22, v16 :: v_dual_lshlrev_b32 v9, v9, v18
	v_cmp_ne_u32_e32 vcc_lo, 0, v4
	s_wait_alu 0xfffd
	v_cndmask_b32_e64 v4, 0, 1, vcc_lo
	s_delay_alu instid0(VALU_DEP_3) | instskip(SKIP_2) | instid1(VALU_DEP_4)
	v_cmp_ne_u32_e32 vcc_lo, v9, v19
	v_add_nc_u32_e32 v19, 0xfffffc10, v21
	v_and_b32_e32 v21, 7, v16
	v_lshl_or_b32 v4, v4, 9, 0x7c00
	s_wait_alu 0xfffd
	v_cndmask_b32_e64 v9, 0, 1, vcc_lo
	v_cmp_gt_i32_e32 vcc_lo, 31, v14
	v_cmp_gt_i32_e64 s1, 1, v19
	v_cmp_eq_u32_e64 s0, 3, v21
	s_delay_alu instid0(VALU_DEP_4)
	v_or_b32_e32 v9, v18, v9
	v_lshl_or_b32 v18, v19, 12, v6
	s_wait_alu 0xfffd
	v_cndmask_b32_e32 v11, 0x7c00, v11, vcc_lo
	v_cmp_lt_i32_e32 vcc_lo, 5, v21
	s_wait_alu 0xf1ff
	v_cndmask_b32_e64 v9, v18, v9, s1
	v_cmp_eq_u32_e64 s1, 0x40f, v14
	s_or_b32 vcc_lo, s0, vcc_lo
	s_delay_alu instid0(VALU_DEP_2) | instskip(NEXT) | instid1(VALU_DEP_2)
	v_and_b32_e32 v14, 7, v9
	v_cndmask_b32_e64 v4, v11, v4, s1
	v_lshrrev_b32_e32 v11, 2, v16
	v_lshrrev_b32_e32 v9, 2, v9
	v_cmp_gt_i32_e64 s1, 31, v20
	v_cmp_eq_u32_e64 s0, 3, v14
	s_wait_alu 0xfffe
	v_add_co_ci_u32_e32 v11, vcc_lo, 0, v11, vcc_lo
	v_cmp_ne_u32_e32 vcc_lo, 0, v12
	s_wait_alu 0xf1ff
	s_delay_alu instid0(VALU_DEP_2) | instskip(SKIP_3) | instid1(VALU_DEP_2)
	v_cndmask_b32_e64 v11, 0x7c00, v11, s1
	s_wait_alu 0xfffd
	v_cndmask_b32_e64 v12, 0, 1, vcc_lo
	v_cmp_lt_i32_e32 vcc_lo, 5, v14
	v_lshl_or_b32 v12, v12, 9, 0x7c00
	s_or_b32 vcc_lo, s0, vcc_lo
	s_wait_alu 0xfffe
	v_add_co_ci_u32_e32 v9, vcc_lo, 0, v9, vcc_lo
	v_cmp_ne_u32_e32 vcc_lo, 0, v6
	s_wait_alu 0xfffd
	v_cndmask_b32_e64 v6, 0, 1, vcc_lo
	v_cmp_eq_u32_e32 vcc_lo, 0x40f, v20
	s_delay_alu instid0(VALU_DEP_2)
	v_lshl_or_b32 v6, v6, 9, 0x7c00
	s_wait_alu 0xfffd
	v_cndmask_b32_e32 v11, v11, v12, vcc_lo
	v_cmp_gt_i32_e32 vcc_lo, 31, v19
	v_lshrrev_b32_e32 v12, 16, v13
	v_and_or_b32 v13, 0x8000, v5, v4
	s_wait_alu 0xfffd
	v_cndmask_b32_e32 v9, 0x7c00, v9, vcc_lo
	v_cmp_eq_u32_e32 vcc_lo, 0x40f, v19
	v_and_or_b32 v11, 0x8000, v12, v11
	v_lshl_or_b32 v12, v13, 16, v8
	s_wait_alu 0xfffd
	v_cndmask_b32_e32 v6, v9, v6, vcc_lo
	v_add_co_u32 v4, vcc_lo, v0, s2
	s_wait_alu 0xfffd
	v_add_co_ci_u32_e32 v5, vcc_lo, s3, v1, vcc_lo
	s_delay_alu instid0(VALU_DEP_3) | instskip(SKIP_4) | instid1(VALU_DEP_3)
	v_and_or_b32 v8, 0x8000, v7, v6
	v_and_b32_e32 v9, 0xffff, v11
	v_add_co_u32 v6, vcc_lo, v4, s6
	s_wait_alu 0xfffd
	v_add_co_ci_u32_e32 v7, vcc_lo, s7, v5, vcc_lo
	v_lshl_or_b32 v11, v8, 16, v9
	s_delay_alu instid0(VALU_DEP_3) | instskip(SKIP_1) | instid1(VALU_DEP_3)
	v_add_co_u32 v8, vcc_lo, v6, s2
	s_wait_alu 0xfffd
	v_add_co_ci_u32_e32 v9, vcc_lo, s3, v7, vcc_lo
	global_store_b32 v[2:3], v17, off
	global_store_b32 v[0:1], v15, off
	;; [unrolled: 1-line block ×5, first 2 shown]
.LBB0_10:
	s_nop 0
	s_sendmsg sendmsg(MSG_DEALLOC_VGPRS)
	s_endpgm
	.section	.rodata,"a",@progbits
	.p2align	6, 0x0
	.amdhsa_kernel bluestein_single_back_len672_dim1_half_op_CI_CI
		.amdhsa_group_segment_fixed_size 2688
		.amdhsa_private_segment_fixed_size 0
		.amdhsa_kernarg_size 104
		.amdhsa_user_sgpr_count 2
		.amdhsa_user_sgpr_dispatch_ptr 0
		.amdhsa_user_sgpr_queue_ptr 0
		.amdhsa_user_sgpr_kernarg_segment_ptr 1
		.amdhsa_user_sgpr_dispatch_id 0
		.amdhsa_user_sgpr_private_segment_size 0
		.amdhsa_wavefront_size32 1
		.amdhsa_uses_dynamic_stack 0
		.amdhsa_enable_private_segment 0
		.amdhsa_system_sgpr_workgroup_id_x 1
		.amdhsa_system_sgpr_workgroup_id_y 0
		.amdhsa_system_sgpr_workgroup_id_z 0
		.amdhsa_system_sgpr_workgroup_info 0
		.amdhsa_system_vgpr_workitem_id 0
		.amdhsa_next_free_vgpr 175
		.amdhsa_next_free_sgpr 20
		.amdhsa_reserve_vcc 1
		.amdhsa_float_round_mode_32 0
		.amdhsa_float_round_mode_16_64 0
		.amdhsa_float_denorm_mode_32 3
		.amdhsa_float_denorm_mode_16_64 3
		.amdhsa_fp16_overflow 0
		.amdhsa_workgroup_processor_mode 1
		.amdhsa_memory_ordered 1
		.amdhsa_forward_progress 0
		.amdhsa_round_robin_scheduling 0
		.amdhsa_exception_fp_ieee_invalid_op 0
		.amdhsa_exception_fp_denorm_src 0
		.amdhsa_exception_fp_ieee_div_zero 0
		.amdhsa_exception_fp_ieee_overflow 0
		.amdhsa_exception_fp_ieee_underflow 0
		.amdhsa_exception_fp_ieee_inexact 0
		.amdhsa_exception_int_div_zero 0
	.end_amdhsa_kernel
	.text
.Lfunc_end0:
	.size	bluestein_single_back_len672_dim1_half_op_CI_CI, .Lfunc_end0-bluestein_single_back_len672_dim1_half_op_CI_CI
                                        ; -- End function
	.section	.AMDGPU.csdata,"",@progbits
; Kernel info:
; codeLenInByte = 22064
; NumSgprs: 22
; NumVgprs: 175
; ScratchSize: 0
; MemoryBound: 0
; FloatMode: 240
; IeeeMode: 1
; LDSByteSize: 2688 bytes/workgroup (compile time only)
; SGPRBlocks: 2
; VGPRBlocks: 21
; NumSGPRsForWavesPerEU: 22
; NumVGPRsForWavesPerEU: 175
; Occupancy: 8
; WaveLimiterHint : 1
; COMPUTE_PGM_RSRC2:SCRATCH_EN: 0
; COMPUTE_PGM_RSRC2:USER_SGPR: 2
; COMPUTE_PGM_RSRC2:TRAP_HANDLER: 0
; COMPUTE_PGM_RSRC2:TGID_X_EN: 1
; COMPUTE_PGM_RSRC2:TGID_Y_EN: 0
; COMPUTE_PGM_RSRC2:TGID_Z_EN: 0
; COMPUTE_PGM_RSRC2:TIDIG_COMP_CNT: 0
	.text
	.p2alignl 7, 3214868480
	.fill 96, 4, 3214868480
	.type	__hip_cuid_17e5d276026fc0e1,@object ; @__hip_cuid_17e5d276026fc0e1
	.section	.bss,"aw",@nobits
	.globl	__hip_cuid_17e5d276026fc0e1
__hip_cuid_17e5d276026fc0e1:
	.byte	0                               ; 0x0
	.size	__hip_cuid_17e5d276026fc0e1, 1

	.ident	"AMD clang version 19.0.0git (https://github.com/RadeonOpenCompute/llvm-project roc-6.4.0 25133 c7fe45cf4b819c5991fe208aaa96edf142730f1d)"
	.section	".note.GNU-stack","",@progbits
	.addrsig
	.addrsig_sym __hip_cuid_17e5d276026fc0e1
	.amdgpu_metadata
---
amdhsa.kernels:
  - .args:
      - .actual_access:  read_only
        .address_space:  global
        .offset:         0
        .size:           8
        .value_kind:     global_buffer
      - .actual_access:  read_only
        .address_space:  global
        .offset:         8
        .size:           8
        .value_kind:     global_buffer
      - .actual_access:  read_only
        .address_space:  global
        .offset:         16
        .size:           8
        .value_kind:     global_buffer
      - .actual_access:  read_only
        .address_space:  global
        .offset:         24
        .size:           8
        .value_kind:     global_buffer
      - .actual_access:  read_only
        .address_space:  global
        .offset:         32
        .size:           8
        .value_kind:     global_buffer
      - .offset:         40
        .size:           8
        .value_kind:     by_value
      - .address_space:  global
        .offset:         48
        .size:           8
        .value_kind:     global_buffer
      - .address_space:  global
        .offset:         56
        .size:           8
        .value_kind:     global_buffer
      - .address_space:  global
        .offset:         64
        .size:           8
        .value_kind:     global_buffer
      - .address_space:  global
        .offset:         72
        .size:           8
        .value_kind:     global_buffer
      - .offset:         80
        .size:           4
        .value_kind:     by_value
      - .address_space:  global
        .offset:         88
        .size:           8
        .value_kind:     global_buffer
      - .address_space:  global
        .offset:         96
        .size:           8
        .value_kind:     global_buffer
    .group_segment_fixed_size: 2688
    .kernarg_segment_align: 8
    .kernarg_segment_size: 104
    .language:       OpenCL C
    .language_version:
      - 2
      - 0
    .max_flat_workgroup_size: 56
    .name:           bluestein_single_back_len672_dim1_half_op_CI_CI
    .private_segment_fixed_size: 0
    .sgpr_count:     22
    .sgpr_spill_count: 0
    .symbol:         bluestein_single_back_len672_dim1_half_op_CI_CI.kd
    .uniform_work_group_size: 1
    .uses_dynamic_stack: false
    .vgpr_count:     175
    .vgpr_spill_count: 0
    .wavefront_size: 32
    .workgroup_processor_mode: 1
amdhsa.target:   amdgcn-amd-amdhsa--gfx1201
amdhsa.version:
  - 1
  - 2
...

	.end_amdgpu_metadata
